;; amdgpu-corpus repo=ROCm/rocFFT kind=compiled arch=gfx950 opt=O3
	.text
	.amdgcn_target "amdgcn-amd-amdhsa--gfx950"
	.amdhsa_code_object_version 6
	.protected	bluestein_single_back_len1456_dim1_sp_op_CI_CI ; -- Begin function bluestein_single_back_len1456_dim1_sp_op_CI_CI
	.globl	bluestein_single_back_len1456_dim1_sp_op_CI_CI
	.p2align	8
	.type	bluestein_single_back_len1456_dim1_sp_op_CI_CI,@function
bluestein_single_back_len1456_dim1_sp_op_CI_CI: ; @bluestein_single_back_len1456_dim1_sp_op_CI_CI
; %bb.0:
	s_load_dwordx4 s[12:15], s[0:1], 0x28
	v_mul_u32_u24_e32 v1, 0x169, v0
	v_add_u32_sdwa v242, s2, v1 dst_sel:DWORD dst_unused:UNUSED_PAD src0_sel:DWORD src1_sel:WORD_1
	v_mov_b32_e32 v243, 0
	s_waitcnt lgkmcnt(0)
	v_cmp_gt_u64_e32 vcc, s[12:13], v[242:243]
	s_and_saveexec_b64 s[2:3], vcc
	s_cbranch_execz .LBB0_25
; %bb.1:
	s_load_dwordx2 s[12:13], s[0:1], 0x0
	s_load_dwordx2 s[16:17], s[0:1], 0x38
	s_movk_i32 s2, 0xb6
	v_mul_lo_u16_sdwa v1, v1, s2 dst_sel:DWORD dst_unused:UNUSED_PAD src0_sel:WORD_1 src1_sel:DWORD
	v_sub_u16_e32 v243, v0, v1
	s_movk_i32 s2, 0x70
	v_cmp_gt_u16_e64 s[6:7], s2, v243
	v_lshlrev_b32_e32 v58, 3, v243
	s_and_saveexec_b64 s[2:3], s[6:7]
	s_cbranch_execz .LBB0_3
; %bb.2:
	s_load_dwordx2 s[4:5], s[0:1], 0x18
	v_mov_b32_e32 v0, s14
	v_mov_b32_e32 v1, s15
	;; [unrolled: 1-line block ×4, first 2 shown]
	s_waitcnt lgkmcnt(0)
	s_load_dwordx4 s[8:11], s[4:5], 0x0
	v_or_b32_e32 v40, 0x380, v243
	v_mov_b32_e32 v42, 0x700
	s_waitcnt lgkmcnt(0)
	v_mad_u64_u32 v[2:3], s[4:5], s10, v242, 0
	v_mad_u64_u32 v[4:5], s[4:5], s8, v243, 0
	v_mov_b32_e32 v6, v3
	v_mov_b32_e32 v8, v5
	v_mad_u64_u32 v[6:7], s[4:5], s11, v242, v[6:7]
	v_mov_b32_e32 v3, v6
	v_mad_u64_u32 v[6:7], s[4:5], s9, v243, v[8:9]
	v_mov_b32_e32 v5, v6
	v_lshl_add_u64 v[0:1], v[2:3], 3, v[0:1]
	v_lshl_add_u64 v[2:3], v[4:5], 3, v[0:1]
	global_load_dwordx2 v[4:5], v[2:3], off
	v_mad_u64_u32 v[2:3], s[4:5], s8, v52, v[2:3]
	s_mul_i32 s10, s9, 0x380
	v_add_u32_e32 v3, s10, v3
	v_mad_u64_u32 v[8:9], s[4:5], s8, v52, v[2:3]
	v_add_u32_e32 v9, s10, v9
	v_mad_u64_u32 v[10:11], s[4:5], s8, v52, v[8:9]
	;; [unrolled: 2-line block ×3, first 2 shown]
	v_add_u32_e32 v21, s10, v21
	global_load_dwordx2 v[12:13], v58, s[12:13]
	global_load_dwordx2 v[14:15], v58, s[12:13] offset:896
	global_load_dwordx2 v[16:17], v58, s[12:13] offset:1792
	;; [unrolled: 1-line block ×3, first 2 shown]
	global_load_dwordx2 v[22:23], v[2:3], off
	global_load_dwordx2 v[24:25], v[8:9], off
	;; [unrolled: 1-line block ×4, first 2 shown]
	global_load_dwordx2 v[30:31], v58, s[12:13] offset:3584
	v_mad_u64_u32 v[2:3], s[4:5], s8, v52, v[20:21]
	v_lshl_add_u64 v[6:7], s[12:13], 0, v[58:59]
	v_add_u32_e32 v3, s10, v3
	s_movk_i32 s4, 0x1000
	global_load_dwordx2 v[8:9], v[2:3], off
	v_add_co_u32_e32 v10, vcc, s4, v6
	v_mad_u64_u32 v[2:3], s[4:5], s8, v52, v[2:3]
	v_mad_u64_u32 v[34:35], s[4:5], s8, v40, 0
	v_add_u32_e32 v3, s10, v3
	v_mov_b32_e32 v36, v35
	v_addc_co_u32_e32 v11, vcc, 0, v7, vcc
	global_load_dwordx2 v[20:21], v[2:3], off
	v_mad_u64_u32 v[2:3], s[4:5], s8, v52, v[2:3]
	v_mad_u64_u32 v[36:37], s[4:5], s9, v40, v[36:37]
	v_add_u32_e32 v3, s10, v3
	global_load_dwordx2 v[38:39], v[10:11], off offset:384
	v_mov_b32_e32 v35, v36
	global_load_dwordx2 v[32:33], v[2:3], off
	v_lshl_add_u64 v[0:1], v[34:35], 3, v[0:1]
	v_lshlrev_b32_e32 v40, 3, v40
	v_mad_u64_u32 v[2:3], s[4:5], s8, v42, v[2:3]
	global_load_dwordx2 v[0:1], v[0:1], off
	s_nop 0
	global_load_dwordx2 v[34:35], v[10:11], off offset:1280
	global_load_dwordx2 v[36:37], v40, s[12:13]
	s_mul_i32 s4, s9, 0x700
	global_load_dwordx2 v[40:41], v[10:11], off offset:2176
	v_add_u32_e32 v3, s4, v3
	global_load_dwordx2 v[42:43], v[2:3], off
	global_load_dwordx2 v[44:45], v[10:11], off offset:3968
	v_mad_u64_u32 v[2:3], s[4:5], s8, v52, v[2:3]
	v_add_u32_e32 v3, s10, v3
	s_movk_i32 s4, 0x2000
	global_load_dwordx2 v[10:11], v[2:3], off
	v_add_co_u32_e32 v6, vcc, s4, v6
	v_mad_u64_u32 v[2:3], s[4:5], s8, v52, v[2:3]
	s_nop 0
	v_addc_co_u32_e32 v7, vcc, 0, v7, vcc
	v_add_u32_e32 v3, s10, v3
	global_load_dwordx2 v[46:47], v[6:7], off offset:768
	global_load_dwordx2 v[48:49], v[2:3], off
	global_load_dwordx2 v[50:51], v[6:7], off offset:1664
	v_mad_u64_u32 v[2:3], s[4:5], s8, v52, v[2:3]
	v_add_u32_e32 v3, s10, v3
	global_load_dwordx2 v[52:53], v[2:3], off
	global_load_dwordx2 v[54:55], v[6:7], off offset:2560
	v_add_u32_e32 v6, 0x400, v58
	s_waitcnt vmcnt(24)
	v_mul_f32_e32 v2, v5, v13
	v_mul_f32_e32 v3, v4, v13
	v_fmac_f32_e32 v2, v4, v12
	v_fma_f32 v3, v5, v12, -v3
	s_waitcnt vmcnt(20)
	v_mul_f32_e32 v4, v23, v15
	v_mul_f32_e32 v5, v22, v15
	v_fmac_f32_e32 v4, v22, v14
	v_fma_f32 v5, v23, v14, -v5
	ds_write2_b64 v58, v[2:3], v[4:5] offset1:112
	s_waitcnt vmcnt(19)
	v_mul_f32_e32 v2, v25, v17
	v_mul_f32_e32 v3, v24, v17
	s_waitcnt vmcnt(18)
	v_mul_f32_e32 v4, v27, v19
	v_mul_f32_e32 v5, v26, v19
	v_fmac_f32_e32 v2, v24, v16
	v_fma_f32 v3, v25, v16, -v3
	v_fmac_f32_e32 v4, v26, v18
	v_fma_f32 v5, v27, v18, -v5
	ds_write2_b64 v6, v[2:3], v[4:5] offset0:96 offset1:208
	s_waitcnt vmcnt(16)
	v_mul_f32_e32 v2, v29, v31
	v_mul_f32_e32 v3, v28, v31
	v_fmac_f32_e32 v2, v28, v30
	v_fma_f32 v3, v29, v30, -v3
	v_add_u32_e32 v6, 0xc00, v58
	s_waitcnt vmcnt(13)
	v_mul_f32_e32 v4, v9, v39
	v_mul_f32_e32 v5, v8, v39
	v_fmac_f32_e32 v4, v8, v38
	v_fma_f32 v5, v9, v38, -v5
	ds_write2_b64 v6, v[2:3], v[4:5] offset0:64 offset1:176
	v_add_u32_e32 v6, 0x1400, v58
	s_waitcnt vmcnt(10)
	v_mul_f32_e32 v2, v21, v35
	v_mul_f32_e32 v3, v20, v35
	v_fmac_f32_e32 v2, v20, v34
	s_waitcnt vmcnt(8)
	v_mul_f32_e32 v4, v33, v41
	v_mul_f32_e32 v5, v32, v41
	v_fma_f32 v3, v21, v34, -v3
	v_fmac_f32_e32 v4, v32, v40
	v_fma_f32 v5, v33, v40, -v5
	ds_write2_b64 v6, v[2:3], v[4:5] offset0:32 offset1:144
	v_mul_f32_e32 v2, v1, v37
	v_fmac_f32_e32 v2, v0, v36
	v_mul_f32_e32 v0, v0, v37
	v_fma_f32 v3, v1, v36, -v0
	s_waitcnt vmcnt(6)
	v_mul_f32_e32 v0, v43, v45
	v_mul_f32_e32 v1, v42, v45
	v_fmac_f32_e32 v0, v42, v44
	v_fma_f32 v1, v43, v44, -v1
	v_add_u32_e32 v4, 0x1800, v58
	ds_write2_b64 v4, v[2:3], v[0:1] offset0:128 offset1:240
	s_waitcnt vmcnt(4)
	v_mul_f32_e32 v0, v11, v47
	v_mul_f32_e32 v1, v10, v47
	s_waitcnt vmcnt(2)
	v_mul_f32_e32 v2, v49, v51
	v_mul_f32_e32 v3, v48, v51
	v_fmac_f32_e32 v0, v10, v46
	v_fma_f32 v1, v11, v46, -v1
	v_fmac_f32_e32 v2, v48, v50
	v_fma_f32 v3, v49, v50, -v3
	v_add_u32_e32 v4, 0x2000, v58
	ds_write2_b64 v4, v[0:1], v[2:3] offset0:96 offset1:208
	s_waitcnt vmcnt(0)
	v_mul_f32_e32 v0, v53, v55
	v_mul_f32_e32 v1, v52, v55
	v_fmac_f32_e32 v0, v52, v54
	v_fma_f32 v1, v53, v54, -v1
	ds_write_b64 v58, v[0:1] offset:10752
.LBB0_3:
	s_or_b64 exec, exec, s[2:3]
	s_load_dwordx2 s[2:3], s[0:1], 0x20
	s_load_dwordx2 s[14:15], s[0:1], 0x8
	v_mov_b64_e32 v[0:1], 0
	s_waitcnt lgkmcnt(0)
	s_barrier
	s_waitcnt lgkmcnt(0)
                                        ; implicit-def: $vgpr6
                                        ; implicit-def: $vgpr12
                                        ; implicit-def: $vgpr10
                                        ; implicit-def: $vgpr20
                                        ; implicit-def: $vgpr18
                                        ; implicit-def: $vgpr46
	s_and_saveexec_b64 s[0:1], s[6:7]
	s_cbranch_execz .LBB0_5
; %bb.4:
	v_add_u32_e32 v4, 0x400, v58
	ds_read2_b64 v[16:19], v4 offset0:96 offset1:208
	v_add_u32_e32 v4, 0xc00, v58
	ds_read2_b64 v[8:11], v4 offset0:64 offset1:176
	v_add_u32_e32 v4, 0x1400, v58
	v_add_u32_e32 v12, 0x1800, v58
	;; [unrolled: 1-line block ×3, first 2 shown]
	ds_read2_b64 v[0:3], v58 offset1:112
	ds_read2_b64 v[4:7], v4 offset0:32 offset1:144
	ds_read2_b64 v[12:15], v12 offset0:128 offset1:240
	;; [unrolled: 1-line block ×3, first 2 shown]
	ds_read_b64 v[46:47], v58 offset:10752
.LBB0_5:
	s_or_b64 exec, exec, s[0:1]
	s_waitcnt lgkmcnt(0)
	v_pk_add_f32 v[44:45], v[2:3], v[46:47] neg_lo:[0,1] neg_hi:[0,1]
	s_mov_b32 s10, 0xbf29c268
	v_pk_add_f32 v[30:31], v[46:47], v[2:3]
	v_pk_add_f32 v[42:43], v[16:17], v[22:23] neg_lo:[0,1] neg_hi:[0,1]
	s_mov_b32 s4, 0xbf3f9e67
	v_pk_mul_f32 v[32:33], v[44:45], s[10:11] op_sel_hi:[1,0]
	s_mov_b32 s18, 0x3f7e222b
	v_pk_add_f32 v[28:29], v[22:23], v[16:17]
	v_pk_fma_f32 v[48:49], v[30:31], s[4:5], v[32:33] op_sel:[0,0,1] op_sel_hi:[1,0,0]
	v_pk_fma_f32 v[50:51], v[30:31], s[4:5], v[32:33] op_sel:[0,0,1] op_sel_hi:[1,0,0] neg_lo:[0,0,1] neg_hi:[0,0,1]
	s_mov_b32 s0, 0x3df6dbef
	v_pk_mul_f32 v[36:37], v[42:43], s[18:19] op_sel_hi:[1,0]
	v_mov_b32_e32 v32, v48
	v_mov_b32_e32 v33, v51
	v_pk_fma_f32 v[56:57], v[28:29], s[0:1], v[36:37] op_sel:[0,0,1] op_sel_hi:[1,0,0]
	v_pk_fma_f32 v[62:63], v[28:29], s[0:1], v[36:37] op_sel:[0,0,1] op_sel_hi:[1,0,0] neg_lo:[0,0,1] neg_hi:[0,0,1]
	v_pk_add_f32 v[40:41], v[18:19], v[20:21] neg_lo:[0,1] neg_hi:[0,1]
	v_pk_add_f32 v[32:33], v[32:33], v[0:1]
	v_mov_b32_e32 v36, v56
	v_mov_b32_e32 v37, v63
	s_mov_b32 s36, 0xbf52af12
	v_pk_add_f32 v[26:27], v[20:21], v[18:19]
	v_pk_add_f32 v[32:33], v[36:37], v[32:33]
	s_mov_b32 s8, 0x3f116cb1
	v_pk_mul_f32 v[36:37], v[40:41], s[36:37] op_sel_hi:[1,0]
	v_pk_add_f32 v[34:35], v[8:9], v[14:15] neg_lo:[0,1] neg_hi:[0,1]
	v_pk_fma_f32 v[64:65], v[26:27], s[8:9], v[36:37] op_sel:[0,0,1] op_sel_hi:[1,0,0]
	v_pk_fma_f32 v[66:67], v[26:27], s[8:9], v[36:37] op_sel:[0,0,1] op_sel_hi:[1,0,0] neg_lo:[0,0,1] neg_hi:[0,0,1]
	v_mov_b32_e32 v36, v64
	v_mov_b32_e32 v37, v67
	s_mov_b32 s34, 0x3e750f2a
	v_pk_add_f32 v[24:25], v[14:15], v[8:9]
	v_pk_add_f32 v[32:33], v[36:37], v[32:33]
	s_mov_b32 s20, 0xbf788fa5
	v_pk_mul_f32 v[36:37], v[34:35], s[34:35] op_sel_hi:[1,0]
	s_mov_b32 s24, 0xbeedf032
	v_pk_fma_f32 v[68:69], v[24:25], s[20:21], v[36:37] op_sel:[0,0,1] op_sel_hi:[1,0,0]
	v_pk_fma_f32 v[70:71], v[24:25], s[20:21], v[36:37] op_sel:[0,0,1] op_sel_hi:[1,0,0] neg_lo:[0,0,1] neg_hi:[0,0,1]
	v_mov_b32_e32 v36, v68
	v_mov_b32_e32 v37, v71
	v_pk_add_f32 v[32:33], v[36:37], v[32:33]
	s_mov_b32 s22, 0x3f62ad3f
	v_pk_mul_f32 v[36:37], v[44:45], s[24:25] op_sel_hi:[1,0]
	v_pk_mul_f32 v[38:39], v[42:43], s[36:37] op_sel_hi:[1,0]
	v_pk_fma_f32 v[78:79], v[30:31], s[22:23], v[36:37] op_sel:[0,0,1] op_sel_hi:[1,0,0]
	v_pk_fma_f32 v[76:77], v[30:31], s[22:23], v[36:37] op_sel:[0,0,1] op_sel_hi:[1,0,0] neg_lo:[0,0,1] neg_hi:[0,0,1]
	v_mov_b32_e32 v36, v78
	v_mov_b32_e32 v37, v77
	v_pk_fma_f32 v[82:83], v[28:29], s[8:9], v[38:39] op_sel:[0,0,1] op_sel_hi:[1,0,0]
	v_pk_fma_f32 v[80:81], v[28:29], s[8:9], v[38:39] op_sel:[0,0,1] op_sel_hi:[1,0,0] neg_lo:[0,0,1] neg_hi:[0,0,1]
	v_mov_b32_e32 v38, v82
	v_mov_b32_e32 v39, v81
	v_pk_add_f32 v[36:37], v[36:37], v[0:1]
	s_mov_b32 s38, 0xbf7e222b
	v_pk_add_f32 v[36:37], v[38:39], v[36:37]
	v_pk_mul_f32 v[38:39], v[40:41], s[38:39] op_sel_hi:[1,0]
	s_mov_b32 s26, 0xbf6f5d39
	v_pk_fma_f32 v[86:87], v[26:27], s[0:1], v[38:39] op_sel:[0,0,1] op_sel_hi:[1,0,0]
	v_pk_fma_f32 v[88:89], v[26:27], s[0:1], v[38:39] op_sel:[0,0,1] op_sel_hi:[1,0,0] neg_lo:[0,0,1] neg_hi:[0,0,1]
	v_mov_b32_e32 v38, v86
	v_mov_b32_e32 v39, v89
	v_pk_add_f32 v[36:37], v[38:39], v[36:37]
	s_mov_b32 s24, 0xbeb58ec6
	v_pk_mul_f32 v[38:39], v[34:35], s[26:27] op_sel_hi:[1,0]
	v_pk_add_f32 v[74:75], v[10:11], v[12:13] neg_lo:[0,1] neg_hi:[0,1]
	v_pk_fma_f32 v[96:97], v[24:25], s[24:25], v[38:39] op_sel:[0,0,1] op_sel_hi:[1,0,0]
	v_pk_fma_f32 v[98:99], v[24:25], s[24:25], v[38:39] op_sel:[0,0,1] op_sel_hi:[1,0,0] neg_lo:[0,0,1] neg_hi:[0,0,1]
	v_mov_b32_e32 v38, v96
	v_mov_b32_e32 v39, v99
	v_pk_add_f32 v[36:37], v[38:39], v[36:37]
	v_pk_add_f32 v[72:73], v[12:13], v[10:11]
	v_pk_mul_f32 v[38:39], v[74:75], s[10:11] op_sel_hi:[1,0]
	s_mov_b32 s28, 0xbe750f2a
	v_pk_fma_f32 v[100:101], v[72:73], s[4:5], v[38:39] op_sel:[0,0,1] op_sel_hi:[1,0,0]
	v_pk_fma_f32 v[102:103], v[72:73], s[4:5], v[38:39] op_sel:[0,0,1] op_sel_hi:[1,0,0] neg_lo:[0,0,1] neg_hi:[0,0,1]
	v_mov_b32_e32 v38, v100
	v_mov_b32_e32 v39, v103
	v_pk_add_f32 v[184:185], v[38:39], v[36:37]
	v_pk_mul_f32 v[36:37], v[44:45], s[36:37] op_sel_hi:[1,0]
	v_pk_mul_f32 v[38:39], v[42:43], s[26:27] op_sel_hi:[1,0]
	v_pk_fma_f32 v[90:91], v[30:31], s[8:9], v[36:37] op_sel:[0,0,1] op_sel_hi:[1,0,0]
	v_pk_fma_f32 v[84:85], v[30:31], s[8:9], v[36:37] op_sel:[0,0,1] op_sel_hi:[1,0,0] neg_lo:[0,0,1] neg_hi:[0,0,1]
	v_mov_b32_e32 v36, v90
	v_mov_b32_e32 v37, v85
	v_pk_fma_f32 v[94:95], v[28:29], s[24:25], v[38:39] op_sel:[0,0,1] op_sel_hi:[1,0,0]
	v_pk_fma_f32 v[92:93], v[28:29], s[24:25], v[38:39] op_sel:[0,0,1] op_sel_hi:[1,0,0] neg_lo:[0,0,1] neg_hi:[0,0,1]
	v_mov_b32_e32 v38, v94
	v_mov_b32_e32 v39, v93
	v_pk_add_f32 v[36:37], v[36:37], v[0:1]
	s_mov_b32 s40, 0x3f29c268
	v_pk_add_f32 v[36:37], v[38:39], v[36:37]
	v_pk_mul_f32 v[38:39], v[40:41], s[28:29] op_sel_hi:[1,0]
	v_pk_mul_f32 v[52:53], v[42:43], s[28:29] op_sel_hi:[1,0]
	v_pk_fma_f32 v[104:105], v[26:27], s[20:21], v[38:39] op_sel:[0,0,1] op_sel_hi:[1,0,0]
	v_pk_fma_f32 v[106:107], v[26:27], s[20:21], v[38:39] op_sel:[0,0,1] op_sel_hi:[1,0,0] neg_lo:[0,0,1] neg_hi:[0,0,1]
	v_mov_b32_e32 v38, v104
	v_mov_b32_e32 v39, v107
	v_pk_add_f32 v[36:37], v[38:39], v[36:37]
	v_pk_mul_f32 v[38:39], v[34:35], s[40:41] op_sel_hi:[1,0]
	v_pk_fma_f32 v[120:121], v[28:29], s[20:21], v[52:53] op_sel:[0,0,1] op_sel_hi:[1,0,0]
	v_pk_fma_f32 v[110:111], v[24:25], s[4:5], v[38:39] op_sel:[0,0,1] op_sel_hi:[1,0,0]
	v_pk_fma_f32 v[112:113], v[24:25], s[4:5], v[38:39] op_sel:[0,0,1] op_sel_hi:[1,0,0] neg_lo:[0,0,1] neg_hi:[0,0,1]
	v_mov_b32_e32 v38, v110
	v_mov_b32_e32 v39, v113
	v_pk_add_f32 v[36:37], v[38:39], v[36:37]
	v_pk_mul_f32 v[38:39], v[74:75], s[18:19] op_sel_hi:[1,0]
	v_pk_fma_f32 v[122:123], v[28:29], s[20:21], v[52:53] op_sel:[0,0,1] op_sel_hi:[1,0,0] neg_lo:[0,0,1] neg_hi:[0,0,1]
	v_pk_fma_f32 v[118:119], v[72:73], s[0:1], v[38:39] op_sel:[0,0,1] op_sel_hi:[1,0,0]
	v_pk_fma_f32 v[124:125], v[72:73], s[0:1], v[38:39] op_sel:[0,0,1] op_sel_hi:[1,0,0] neg_lo:[0,0,1] neg_hi:[0,0,1]
	v_mov_b32_e32 v38, v118
	v_mov_b32_e32 v39, v125
	v_pk_add_f32 v[36:37], v[38:39], v[36:37]
	v_pk_mul_f32 v[38:39], v[44:45], s[38:39] op_sel_hi:[1,0]
	v_mov_b32_e32 v52, v120
	v_pk_fma_f32 v[114:115], v[30:31], s[0:1], v[38:39] op_sel:[0,0,1] op_sel_hi:[1,0,0]
	v_pk_fma_f32 v[116:117], v[30:31], s[0:1], v[38:39] op_sel:[0,0,1] op_sel_hi:[1,0,0] neg_lo:[0,0,1] neg_hi:[0,0,1]
	v_mov_b32_e32 v38, v114
	v_mov_b32_e32 v39, v117
	;; [unrolled: 1-line block ×3, first 2 shown]
	v_pk_add_f32 v[38:39], v[38:39], v[0:1]
	s_mov_b32 s30, 0x3f6f5d39
	v_pk_add_f32 v[38:39], v[52:53], v[38:39]
	v_pk_mul_f32 v[52:53], v[40:41], s[30:31] op_sel_hi:[1,0]
	s_mov_b32 s30, 0x3eedf032
	v_pk_fma_f32 v[128:129], v[26:27], s[24:25], v[52:53] op_sel:[0,0,1] op_sel_hi:[1,0,0]
	v_pk_fma_f32 v[134:135], v[26:27], s[24:25], v[52:53] op_sel:[0,0,1] op_sel_hi:[1,0,0] neg_lo:[0,0,1] neg_hi:[0,0,1]
	v_mov_b32_e32 v52, v128
	v_mov_b32_e32 v53, v135
	v_pk_add_f32 v[38:39], v[52:53], v[38:39]
	v_pk_mul_f32 v[52:53], v[34:35], s[30:31] op_sel_hi:[1,0]
	v_pk_mul_f32 v[54:55], v[42:43], s[40:41] op_sel_hi:[1,0]
	v_pk_fma_f32 v[140:141], v[24:25], s[22:23], v[52:53] op_sel:[0,0,1] op_sel_hi:[1,0,0]
	v_pk_fma_f32 v[142:143], v[24:25], s[22:23], v[52:53] op_sel:[0,0,1] op_sel_hi:[1,0,0] neg_lo:[0,0,1] neg_hi:[0,0,1]
	v_mov_b32_e32 v52, v140
	v_mov_b32_e32 v53, v143
	v_pk_add_f32 v[38:39], v[52:53], v[38:39]
	v_pk_mul_f32 v[52:53], v[74:75], s[36:37] op_sel_hi:[1,0]
	v_pk_fma_f32 v[136:137], v[28:29], s[4:5], v[54:55] op_sel:[0,0,1] op_sel_hi:[1,0,0]
	v_pk_fma_f32 v[144:145], v[72:73], s[8:9], v[52:53] op_sel:[0,0,1] op_sel_hi:[1,0,0]
	v_pk_fma_f32 v[146:147], v[72:73], s[8:9], v[52:53] op_sel:[0,0,1] op_sel_hi:[1,0,0] neg_lo:[0,0,1] neg_hi:[0,0,1]
	v_mov_b32_e32 v52, v144
	v_mov_b32_e32 v53, v147
	v_pk_add_f32 v[52:53], v[52:53], v[38:39]
	v_pk_mul_f32 v[38:39], v[44:45], s[26:27] op_sel_hi:[1,0]
	v_pk_fma_f32 v[138:139], v[28:29], s[4:5], v[54:55] op_sel:[0,0,1] op_sel_hi:[1,0,0] neg_lo:[0,0,1] neg_hi:[0,0,1]
	v_pk_fma_f32 v[130:131], v[30:31], s[24:25], v[38:39] op_sel:[0,0,1] op_sel_hi:[1,0,0]
	v_pk_fma_f32 v[132:133], v[30:31], s[24:25], v[38:39] op_sel:[0,0,1] op_sel_hi:[1,0,0] neg_lo:[0,0,1] neg_hi:[0,0,1]
	v_mov_b32_e32 v38, v130
	v_mov_b32_e32 v39, v133
	;; [unrolled: 1-line block ×4, first 2 shown]
	v_pk_add_f32 v[38:39], v[38:39], v[0:1]
	v_pk_add_f32 v[126:127], v[4:5], v[6:7] neg_lo:[0,1] neg_hi:[0,1]
	v_pk_add_f32 v[38:39], v[54:55], v[38:39]
	v_pk_mul_f32 v[54:55], v[40:41], s[30:31] op_sel_hi:[1,0]
	v_pk_add_f32 v[108:109], v[6:7], v[4:5]
	v_pk_fma_f32 v[152:153], v[26:27], s[22:23], v[54:55] op_sel:[0,0,1] op_sel_hi:[1,0,0]
	v_pk_fma_f32 v[154:155], v[26:27], s[22:23], v[54:55] op_sel:[0,0,1] op_sel_hi:[1,0,0] neg_lo:[0,0,1] neg_hi:[0,0,1]
	v_mov_b32_e32 v54, v152
	v_mov_b32_e32 v55, v155
	v_pk_add_f32 v[38:39], v[54:55], v[38:39]
	v_pk_mul_f32 v[54:55], v[34:35], s[38:39] op_sel_hi:[1,0]
	s_mov_b32 s36, 0x3f52af12
	v_pk_fma_f32 v[156:157], v[24:25], s[0:1], v[54:55] op_sel:[0,0,1] op_sel_hi:[1,0,0]
	v_pk_fma_f32 v[158:159], v[24:25], s[0:1], v[54:55] op_sel:[0,0,1] op_sel_hi:[1,0,0] neg_lo:[0,0,1] neg_hi:[0,0,1]
	v_mov_b32_e32 v54, v156
	v_mov_b32_e32 v55, v159
	v_pk_add_f32 v[38:39], v[54:55], v[38:39]
	v_pk_mul_f32 v[54:55], v[74:75], s[34:35] op_sel_hi:[1,0]
	v_mul_lo_u16_e32 v100, 13, v243
	v_pk_fma_f32 v[160:161], v[72:73], s[20:21], v[54:55] op_sel:[0,0,1] op_sel_hi:[1,0,0]
	v_pk_fma_f32 v[162:163], v[72:73], s[20:21], v[54:55] op_sel:[0,0,1] op_sel_hi:[1,0,0] neg_lo:[0,0,1] neg_hi:[0,0,1]
	v_mov_b32_e32 v54, v160
	v_mov_b32_e32 v55, v163
	v_pk_add_f32 v[54:55], v[54:55], v[38:39]
	v_pk_mul_f32 v[38:39], v[74:75], s[30:31] op_sel_hi:[1,0]
	s_nop 0
	v_pk_fma_f32 v[148:149], v[72:73], s[22:23], v[38:39] op_sel:[0,0,1] op_sel_hi:[1,0,0]
	v_pk_fma_f32 v[150:151], v[72:73], s[22:23], v[38:39] op_sel:[0,0,1] op_sel_hi:[1,0,0] neg_lo:[0,0,1] neg_hi:[0,0,1]
	v_mov_b32_e32 v38, v148
	v_mov_b32_e32 v39, v151
	v_pk_add_f32 v[32:33], v[38:39], v[32:33]
	v_pk_mul_f32 v[38:39], v[126:127], s[30:31] op_sel_hi:[1,0]
	s_barrier
	v_pk_fma_f32 v[176:177], v[108:109], s[22:23], v[38:39] op_sel:[0,0,1] op_sel_hi:[1,0,0]
	v_pk_fma_f32 v[178:179], v[108:109], s[22:23], v[38:39] op_sel:[0,0,1] op_sel_hi:[1,0,0] neg_lo:[0,0,1] neg_hi:[0,0,1]
	v_mov_b32_e32 v38, v176
	v_mov_b32_e32 v39, v179
	v_pk_add_f32 v[38:39], v[38:39], v[36:37]
	v_pk_mul_f32 v[36:37], v[126:127], s[10:11] op_sel_hi:[1,0]
	s_nop 0
	v_pk_fma_f32 v[172:173], v[108:109], s[4:5], v[36:37] op_sel:[0,0,1] op_sel_hi:[1,0,0]
	v_pk_fma_f32 v[174:175], v[108:109], s[4:5], v[36:37] op_sel:[0,0,1] op_sel_hi:[1,0,0] neg_lo:[0,0,1] neg_hi:[0,0,1]
	v_mov_b32_e32 v36, v172
	v_mov_b32_e32 v37, v175
	v_pk_add_f32 v[52:53], v[36:37], v[52:53]
	v_pk_mul_f32 v[36:37], v[126:127], s[36:37] op_sel_hi:[1,0]
	s_nop 0
	;; [unrolled: 7-line block ×4, first 2 shown]
	v_pk_fma_f32 v[180:181], v[108:109], s[20:21], v[32:33] op_sel:[0,0,1] op_sel_hi:[1,0,0]
	v_pk_fma_f32 v[182:183], v[108:109], s[20:21], v[32:33] op_sel:[0,0,1] op_sel_hi:[1,0,0] neg_lo:[0,0,1] neg_hi:[0,0,1]
	v_mov_b32_e32 v32, v180
	v_mov_b32_e32 v33, v183
	v_pk_add_f32 v[32:33], v[32:33], v[184:185]
	s_and_saveexec_b64 s[34:35], s[6:7]
	s_cbranch_execz .LBB0_7
; %bb.6:
	v_pk_add_f32 v[2:3], v[2:3], v[0:1]
	v_mov_b32_e32 v77, v79
	v_pk_add_f32 v[2:3], v[16:17], v[2:3]
	v_mov_b32_e32 v81, v83
	;; [unrolled: 2-line block ×5, first 2 shown]
	v_pk_add_f32 v[2:3], v[4:5], v[2:3]
	v_pk_add_f32 v[4:5], v[76:77], v[0:1]
	;; [unrolled: 1-line block ×11, first 2 shown]
	v_mov_b32_e32 v183, v181
	v_pk_add_f32 v[2:3], v[46:47], v[2:3]
	v_pk_add_f32 v[4:5], v[182:183], v[4:5]
	v_lshlrev_b32_e32 v46, 3, v100
	v_mov_b32_e32 v85, v91
	v_mov_b32_e32 v117, v115
	ds_write2_b64 v46, v[2:3], v[4:5] offset1:1
	v_mov_b32_e32 v93, v95
	v_pk_add_f32 v[2:3], v[84:85], v[0:1]
	v_pk_add_f32 v[4:5], v[116:117], v[0:1]
	v_mov_b32_e32 v123, v121
	v_pk_add_f32 v[2:3], v[92:93], v[2:3]
	v_mov_b32_e32 v107, v105
	;; [unrolled: 2-line block ×9, first 2 shown]
	v_pk_add_f32 v[2:3], v[178:179], v[2:3]
	v_pk_add_f32 v[4:5], v[174:175], v[4:5]
	v_mov_b32_e32 v133, v131
	v_mov_b32_e32 v51, v49
	ds_write2_b64 v46, v[2:3], v[4:5] offset0:2 offset1:3
	v_pk_add_f32 v[2:3], v[132:133], v[0:1]
	v_mov_b32_e32 v139, v137
	v_pk_add_f32 v[4:5], v[50:51], v[0:1]
	v_mov_b32_e32 v63, v57
	;; [unrolled: 2-line block ×10, first 2 shown]
	v_pk_add_f32 v[2:3], v[170:171], v[2:3]
	v_pk_add_f32 v[4:5], v[166:167], v[4:5]
	ds_write2_b64 v46, v[2:3], v[4:5] offset0:4 offset1:5
	v_pk_mul_f32 v[2:3], v[44:45], s[28:29] op_sel_hi:[1,0]
	v_pk_mul_f32 v[4:5], v[42:43], s[30:31] op_sel_hi:[1,0]
	v_pk_fma_f32 v[14:15], v[30:31], s[20:21], v[2:3] op_sel:[0,0,1] op_sel_hi:[1,0,0] neg_lo:[0,0,1] neg_hi:[0,0,1]
	v_pk_fma_f32 v[2:3], v[30:31], s[20:21], v[2:3] op_sel:[0,0,1] op_sel_hi:[1,0,0]
	v_mov_b32_e32 v16, v14
	v_mov_b32_e32 v17, v3
	v_pk_fma_f32 v[18:19], v[28:29], s[22:23], v[4:5] op_sel:[0,0,1] op_sel_hi:[1,0,0] neg_lo:[0,0,1] neg_hi:[0,0,1]
	v_pk_fma_f32 v[4:5], v[28:29], s[22:23], v[4:5] op_sel:[0,0,1] op_sel_hi:[1,0,0]
	v_pk_mul_f32 v[6:7], v[40:41], s[10:11] op_sel_hi:[1,0]
	v_pk_add_f32 v[16:17], v[16:17], v[0:1]
	v_mov_b32_e32 v20, v18
	v_mov_b32_e32 v21, v5
	v_pk_add_f32 v[16:17], v[20:21], v[16:17]
	v_pk_fma_f32 v[20:21], v[26:27], s[4:5], v[6:7] op_sel:[0,0,1] op_sel_hi:[1,0,0] neg_lo:[0,0,1] neg_hi:[0,0,1]
	v_pk_fma_f32 v[6:7], v[26:27], s[4:5], v[6:7] op_sel:[0,0,1] op_sel_hi:[1,0,0]
	v_pk_mul_f32 v[8:9], v[34:35], s[36:37] op_sel_hi:[1,0]
	v_mov_b32_e32 v22, v20
	v_mov_b32_e32 v23, v7
	v_pk_add_f32 v[16:17], v[22:23], v[16:17]
	v_pk_fma_f32 v[22:23], v[24:25], s[8:9], v[8:9] op_sel:[0,0,1] op_sel_hi:[1,0,0] neg_lo:[0,0,1] neg_hi:[0,0,1]
	v_pk_fma_f32 v[8:9], v[24:25], s[8:9], v[8:9] op_sel:[0,0,1] op_sel_hi:[1,0,0]
	v_mov_b32_e32 v3, v15
	v_pk_mul_f32 v[10:11], v[74:75], s[26:27] op_sel_hi:[1,0]
	v_mov_b32_e32 v24, v22
	v_mov_b32_e32 v25, v9
	v_pk_add_f32 v[0:1], v[2:3], v[0:1]
	v_mov_b32_e32 v5, v19
	v_pk_add_f32 v[16:17], v[24:25], v[16:17]
	v_pk_fma_f32 v[24:25], v[72:73], s[24:25], v[10:11] op_sel:[0,0,1] op_sel_hi:[1,0,0] neg_lo:[0,0,1] neg_hi:[0,0,1]
	v_pk_fma_f32 v[10:11], v[72:73], s[24:25], v[10:11] op_sel:[0,0,1] op_sel_hi:[1,0,0]
	v_pk_add_f32 v[0:1], v[4:5], v[0:1]
	v_mov_b32_e32 v7, v21
	v_pk_mul_f32 v[12:13], v[126:127], s[18:19] op_sel_hi:[1,0]
	v_mov_b32_e32 v26, v24
	v_mov_b32_e32 v27, v11
	v_pk_add_f32 v[0:1], v[6:7], v[0:1]
	v_mov_b32_e32 v9, v23
	v_pk_add_f32 v[16:17], v[26:27], v[16:17]
	v_pk_fma_f32 v[26:27], v[108:109], s[0:1], v[12:13] op_sel:[0,0,1] op_sel_hi:[1,0,0] neg_lo:[0,0,1] neg_hi:[0,0,1]
	v_pk_fma_f32 v[12:13], v[108:109], s[0:1], v[12:13] op_sel:[0,0,1] op_sel_hi:[1,0,0]
	v_pk_add_f32 v[0:1], v[8:9], v[0:1]
	v_mov_b32_e32 v11, v25
	v_mov_b32_e32 v28, v26
	;; [unrolled: 1-line block ×3, first 2 shown]
	v_pk_add_f32 v[0:1], v[10:11], v[0:1]
	v_mov_b32_e32 v13, v27
	v_pk_add_f32 v[16:17], v[28:29], v[16:17]
	v_pk_add_f32 v[0:1], v[12:13], v[0:1]
	ds_write2_b64 v46, v[16:17], v[0:1] offset0:6 offset1:7
	ds_write2_b64 v46, v[36:37], v[54:55] offset0:8 offset1:9
	;; [unrolled: 1-line block ×3, first 2 shown]
	ds_write_b64 v46, v[32:33] offset:96
.LBB0_7:
	s_or_b64 exec, exec, s[34:35]
	s_movk_i32 s0, 0x4f
	v_mul_lo_u16_sdwa v4, v243, s0 dst_sel:DWORD dst_unused:UNUSED_PAD src0_sel:BYTE_0 src1_sel:DWORD
	v_lshrrev_b16_e32 v5, 10, v4
	v_add_u16_e32 v2, 0xb6, v243
	v_mul_lo_u16_e32 v0, 13, v5
	v_mul_u32_u24_e32 v3, 0x4ec5, v2
	v_sub_u16_e32 v0, v243, v0
	v_lshrrev_b32_e32 v11, 18, v3
	v_and_b32_e32 v10, 0xff, v0
	v_mul_lo_u16_e32 v0, 13, v11
	v_sub_u16_e32 v34, v2, v0
	v_mul_lo_u16_e32 v0, 24, v34
	v_mov_b32_e32 v1, 0
	v_lshl_add_u64 v[6:7], s[14:15], 0, v[0:1]
	s_load_dwordx4 s[8:11], s[2:3], 0x0
	s_waitcnt lgkmcnt(0)
	s_barrier
	global_load_dwordx4 v[16:19], v[6:7], off
	v_mad_u64_u32 v[8:9], s[0:1], v10, 24, s[14:15]
	global_load_dwordx2 v[114:115], v[6:7], off offset:16
	global_load_dwordx4 v[12:15], v[8:9], off
	global_load_dwordx2 v[62:63], v[8:9], off offset:16
	v_add_u32_e32 v0, 0xa00, v58
	v_add_u32_e32 v24, 0x1600, v58
	;; [unrolled: 1-line block ×3, first 2 shown]
	ds_read2_b64 v[6:9], v58 offset1:182
	ds_read2_b64 v[20:23], v0 offset0:44 offset1:226
	ds_read2_b64 v[24:27], v24 offset0:24 offset1:206
	;; [unrolled: 1-line block ×3, first 2 shown]
	v_mul_u32_u24_e32 v0, 52, v5
	v_mad_legacy_u16 v5, v11, 52, v34
	v_add_lshl_u32 v101, v0, v10, 3
	v_add_u32_e32 v50, 0xc00, v58
	v_add_u32_e32 v56, 0x1a00, v58
	v_lshlrev_b32_e32 v65, 3, v5
	s_waitcnt lgkmcnt(0)
	s_barrier
	v_cmp_lt_u16_e64 s[4:5], 25, v243
	v_cmp_gt_u16_e64 s[2:3], 26, v243
                                        ; implicit-def: $vgpr68
	s_waitcnt vmcnt(3)
	v_mov_b32_e32 v0, v19
	v_pk_mul_f32 v[10:11], v[22:23], v[16:17] op_sel:[0,1]
	s_waitcnt vmcnt(2)
	v_pk_mul_f32 v[34:35], v[30:31], v[114:115] op_sel:[0,1]
	s_waitcnt vmcnt(1)
	v_pk_mul_f32 v[40:41], v[20:21], v[12:13] op_sel:[0,1]
	v_mov_b32_e32 v42, v15
	s_waitcnt vmcnt(0)
	v_pk_mul_f32 v[44:45], v[28:29], v[62:63] op_sel:[0,1]
	v_pk_mul_f32 v[46:47], v[26:27], v[0:1] op_sel_hi:[1,0]
	v_pk_fma_f32 v[48:49], v[22:23], v[16:17], v[10:11] op_sel:[1,0,0] op_sel_hi:[0,1,1]
	v_pk_fma_f32 v[10:11], v[22:23], v[16:17], v[10:11] op_sel:[1,0,0] op_sel_hi:[0,0,1] neg_lo:[0,0,1] neg_hi:[0,0,1]
	v_pk_fma_f32 v[22:23], v[30:31], v[114:115], v[34:35] op_sel:[1,0,0] op_sel_hi:[0,1,1]
	v_pk_fma_f32 v[30:31], v[30:31], v[114:115], v[34:35] op_sel:[1,0,0] op_sel_hi:[0,0,1] neg_lo:[0,0,1] neg_hi:[0,0,1]
	v_pk_fma_f32 v[34:35], v[20:21], v[12:13], v[40:41] op_sel:[0,0,1] op_sel_hi:[1,1,0] neg_lo:[0,0,1] neg_hi:[0,0,1]
	v_pk_fma_f32 v[20:21], v[20:21], v[12:13], v[40:41] op_sel:[0,0,1] op_sel_hi:[1,0,0]
	v_pk_mul_f32 v[40:41], v[24:25], v[42:43] op_sel_hi:[1,0]
	v_pk_fma_f32 v[42:43], v[28:29], v[62:63], v[44:45] op_sel:[0,0,1] op_sel_hi:[1,1,0] neg_lo:[0,0,1] neg_hi:[0,0,1]
	v_pk_fma_f32 v[28:29], v[28:29], v[62:63], v[44:45] op_sel:[0,0,1] op_sel_hi:[1,0,0]
	v_pk_fma_f32 v[44:45], v[26:27], v[18:19], v[46:47] op_sel:[0,0,1] op_sel_hi:[1,1,0] neg_lo:[0,0,1] neg_hi:[0,0,1]
	v_pk_fma_f32 v[26:27], v[26:27], v[18:19], v[46:47] op_sel:[0,0,1] op_sel_hi:[1,0,0]
	v_mov_b32_e32 v49, v11
	v_mov_b32_e32 v35, v21
	v_pk_fma_f32 v[10:11], v[24:25], v[14:15], v[40:41] op_sel:[0,0,1] op_sel_hi:[1,1,0] neg_lo:[0,0,1] neg_hi:[0,0,1]
	v_pk_fma_f32 v[20:21], v[24:25], v[14:15], v[40:41] op_sel:[0,0,1] op_sel_hi:[1,0,0]
	v_mov_b32_e32 v23, v31
	v_mov_b32_e32 v43, v29
	;; [unrolled: 1-line block ×4, first 2 shown]
	v_pk_add_f32 v[22:23], v[48:49], v[22:23] neg_lo:[0,1] neg_hi:[0,1]
	v_pk_add_f32 v[20:21], v[34:35], v[42:43] neg_lo:[0,1] neg_hi:[0,1]
	;; [unrolled: 1-line block ×4, first 2 shown]
	v_pk_fma_f32 v[26:27], v[34:35], 2.0, v[20:21] op_sel_hi:[1,0,1] neg_lo:[0,0,1] neg_hi:[0,0,1]
	v_pk_fma_f32 v[28:29], v[48:49], 2.0, v[22:23] op_sel_hi:[1,0,1] neg_lo:[0,0,1] neg_hi:[0,0,1]
	v_pk_add_f32 v[34:35], v[24:25], v[22:23] neg_lo:[0,1] neg_hi:[0,1]
	v_pk_add_f32 v[66:67], v[24:25], v[22:23]
	v_pk_fma_f32 v[6:7], v[6:7], 2.0, v[10:11] op_sel_hi:[1,0,1] neg_lo:[0,0,1] neg_hi:[0,0,1]
	v_pk_add_f32 v[22:23], v[10:11], v[20:21] op_sel:[0,1] op_sel_hi:[1,0] neg_lo:[0,1] neg_hi:[0,1]
	v_pk_add_f32 v[20:21], v[10:11], v[20:21] op_sel:[0,1] op_sel_hi:[1,0]
	v_pk_fma_f32 v[8:9], v[8:9], 2.0, v[24:25] op_sel_hi:[1,0,1] neg_lo:[0,0,1] neg_hi:[0,0,1]
	v_pk_add_f32 v[26:27], v[6:7], v[26:27] neg_lo:[0,1] neg_hi:[0,1]
	v_mov_b32_e32 v23, v21
	v_mov_b32_e32 v35, v67
	v_pk_add_f32 v[20:21], v[8:9], v[28:29] op_sel:[0,1] op_sel_hi:[1,0] neg_lo:[0,1] neg_hi:[0,1]
	v_pk_fma_f32 v[6:7], v[6:7], 2.0, v[26:27] op_sel_hi:[1,0,1] neg_lo:[0,0,1] neg_hi:[0,0,1]
	v_pk_fma_f32 v[10:11], v[10:11], 2.0, v[22:23] op_sel_hi:[1,0,1] neg_lo:[0,0,1] neg_hi:[0,0,1]
	ds_write2_b64 v101, v[26:27], v[22:23] offset0:26 offset1:39
	v_pk_fma_f32 v[22:23], v[24:25], 2.0, v[34:35] op_sel_hi:[1,0,1] neg_lo:[0,0,1] neg_hi:[0,0,1]
	v_pk_fma_f32 v[8:9], v[8:9], 2.0, v[20:21] op_sel_hi:[1,0,1] neg_lo:[0,0,1] neg_hi:[0,0,1]
	ds_write2_b64 v101, v[6:7], v[10:11] offset1:13
	ds_write2_b64 v65, v[8:9], v[22:23] offset1:13
	ds_write2_b64 v65, v[20:21], v[34:35] offset0:26 offset1:39
	s_waitcnt lgkmcnt(0)
	s_barrier
	ds_read2_b64 v[40:43], v58 offset1:208
	ds_read2_b64 v[48:51], v50 offset0:32 offset1:240
	ds_read2_b64 v[44:47], v56 offset1:208
	ds_read_b64 v[56:57], v58 offset:9984
                                        ; implicit-def: $vgpr66
	s_and_saveexec_b64 s[0:1], s[2:3]
	s_cbranch_execz .LBB0_9
; %bb.8:
	v_add_u32_e32 v5, 0x1200, v58
	v_add_u32_e32 v0, 0x500, v58
	ds_read2_b64 v[6:9], v5 offset0:22 offset1:230
	v_add_u32_e32 v5, 0x1f00, v58
	ds_read_b64 v[66:67], v58 offset:11440
	ds_read2_b64 v[30:33], v5 offset0:22 offset1:230
	ds_read2_b64 v[34:37], v0 offset0:22 offset1:230
	s_waitcnt lgkmcnt(2)
	v_mov_b32_e32 v68, v67
	v_mov_b32_e32 v52, v8
	v_mov_b32_e32 v53, v9
	s_waitcnt lgkmcnt(1)
	v_mov_b32_e32 v38, v30
	v_mov_b32_e32 v39, v31
	;; [unrolled: 1-line block ×4, first 2 shown]
	s_waitcnt lgkmcnt(0)
	v_mov_b32_e32 v67, v35
.LBB0_9:
	s_or_b64 exec, exec, s[0:1]
	v_lshrrev_b16_e32 v59, 12, v4
	v_mul_lo_u16_e32 v0, 52, v59
	v_sub_u16_e32 v0, v243, v0
	v_and_b32_e32 v60, 0xff, v0
	v_lshrrev_b32_e32 v0, 20, v3
	v_mul_lo_u16_e32 v0, 52, v0
	v_sub_u16_e32 v61, v2, v0
	v_mad_u64_u32 v[70:71], s[0:1], v60, 48, s[14:15]
	v_mul_lo_u16_e32 v0, 48, v61
	global_load_dwordx4 v[24:27], v[70:71], off offset:328
	global_load_dwordx4 v[20:23], v[70:71], off offset:312
	v_lshl_add_u64 v[72:73], s[14:15], 0, v[0:1]
	global_load_dwordx4 v[28:31], v[70:71], off offset:344
	global_load_dwordx4 v[4:7], v[72:73], off offset:312
	;; [unrolled: 1-line block ×4, first 2 shown]
	v_mov_b32_e32 v74, v53
	v_mov_b32_e32 v78, v33
	;; [unrolled: 1-line block ×6, first 2 shown]
	s_mov_b32 s24, 0x3f4a47b2
	s_mov_b32 s26, 0x3d64c772
	;; [unrolled: 1-line block ×8, first 2 shown]
	s_waitcnt lgkmcnt(0)
	s_barrier
	v_lshlrev_b32_e32 v118, 3, v61
	s_waitcnt vmcnt(5)
	v_mul_f32_e32 v71, v51, v24
	v_mul_f32_e32 v73, v50, v25
	s_waitcnt vmcnt(4)
	v_mul_f32_e32 v33, v49, v23
	s_waitcnt vmcnt(1)
	v_pk_mul_f32 v[74:75], v[74:75], v[0:1] op_sel:[0,1] op_sel_hi:[0,0]
	v_mov_b32_e32 v84, v3
	v_mov_b32_e32 v85, v2
	s_waitcnt vmcnt(0)
	v_pk_mul_f32 v[78:79], v[78:79], v[8:9] op_sel_hi:[0,1]
	v_mov_b32_e32 v86, v11
	v_mov_b32_e32 v87, v10
	v_mul_f32_e32 v55, v45, v26
	v_mul_f32_e32 v67, v44, v27
	;; [unrolled: 1-line block ×3, first 2 shown]
	v_pk_mul_f32 v[80:81], v[70:71], v[4:5] op_sel:[0,1] op_sel_hi:[0,0]
	v_pk_mul_f32 v[82:83], v[72:73], v[6:7] op_sel_hi:[0,1]
	v_fma_f32 v70, v48, v22, -v33
	v_pk_fma_f32 v[90:91], v[52:53], v[0:1], v[74:75] neg_lo:[0,0,1] neg_hi:[0,0,1]
	v_pk_fma_f32 v[52:53], v[52:53], v[0:1], v[74:75] op_sel_hi:[0,1,1]
	v_pk_mul_f32 v[74:75], v[76:77], v[84:85] op_sel_hi:[0,1]
	v_pk_fma_f32 v[76:77], v[32:33], v[8:9], v[78:79] op_sel:[0,0,1] op_sel_hi:[1,1,0] neg_lo:[0,0,1] neg_hi:[0,0,1]
	v_pk_fma_f32 v[32:33], v[32:33], v[8:9], v[78:79] op_sel:[0,0,1] op_sel_hi:[0,1,0]
	v_pk_mul_f32 v[68:69], v[68:69], v[86:87] op_sel_hi:[0,1]
	v_fma_f32 v72, v46, v28, -v37
	v_pk_fma_f32 v[88:89], v[36:37], v[4:5], v[80:81] neg_lo:[0,0,1] neg_hi:[0,0,1]
	v_pk_fma_f32 v[36:37], v[36:37], v[4:5], v[80:81] op_sel_hi:[0,1,1]
	v_pk_fma_f32 v[80:81], v[54:55], v[6:7], v[82:83] op_sel:[0,0,1] op_sel_hi:[1,1,0] neg_lo:[0,0,1] neg_hi:[0,0,1]
	v_pk_fma_f32 v[82:83], v[54:55], v[6:7], v[82:83] op_sel:[0,0,1] op_sel_hi:[0,1,0]
	v_mov_b32_e32 v91, v53
	v_mov_b32_e32 v77, v33
	v_pk_fma_f32 v[32:33], v[66:67], v[10:11], v[68:69] neg_lo:[0,0,1] neg_hi:[0,0,1]
	v_pk_fma_f32 v[52:53], v[66:67], v[10:11], v[68:69] op_sel_hi:[0,1,1]
	v_mov_b32_e32 v89, v37
	v_mov_b32_e32 v81, v83
	v_pk_fma_f32 v[36:37], v[38:39], v[2:3], v[74:75] neg_lo:[0,0,1] neg_hi:[0,0,1]
	v_pk_fma_f32 v[38:39], v[38:39], v[2:3], v[74:75] op_sel_hi:[0,1,1]
	v_mov_b32_e32 v33, v53
	v_mov_b32_e32 v37, v39
	v_pk_add_f32 v[38:39], v[80:81], v[76:77]
	v_pk_add_f32 v[68:69], v[88:89], v[32:33]
	v_pk_add_f32 v[52:53], v[80:81], v[76:77] neg_lo:[0,1] neg_hi:[0,1]
	v_pk_add_f32 v[32:33], v[88:89], v[32:33] neg_lo:[0,1] neg_hi:[0,1]
	v_pk_add_f32 v[74:75], v[90:91], v[36:37]
	v_pk_add_f32 v[36:37], v[36:37], v[90:91] neg_lo:[0,1] neg_hi:[0,1]
	v_pk_add_f32 v[76:77], v[38:39], v[68:69]
	v_pk_add_f32 v[78:79], v[38:39], v[68:69] neg_lo:[0,1] neg_hi:[0,1]
	v_pk_add_f32 v[68:69], v[68:69], v[74:75] neg_lo:[0,1] neg_hi:[0,1]
	;; [unrolled: 1-line block ×3, first 2 shown]
	v_pk_add_f32 v[80:81], v[36:37], v[52:53] op_sel:[1,1] op_sel_hi:[0,0]
	v_pk_add_f32 v[82:83], v[36:37], v[52:53] op_sel:[1,1] op_sel_hi:[0,0] neg_lo:[0,1] neg_hi:[0,1]
	v_pk_add_f32 v[84:85], v[52:53], v[32:33] op_sel:[1,1] op_sel_hi:[0,0] neg_lo:[0,1] neg_hi:[0,1]
	v_mov_b32_e32 v53, v75
	v_mov_b32_e32 v52, v76
	;; [unrolled: 1-line block ×3, first 2 shown]
	v_pk_add_f32 v[74:75], v[52:53], v[74:75]
	v_pk_add_f32 v[36:37], v[32:33], v[36:37] op_sel:[1,1] op_sel_hi:[0,0] neg_lo:[0,1] neg_hi:[0,1]
	v_pk_add_f32 v[32:33], v[80:81], v[32:33] op_sel:[0,1] op_sel_hi:[1,0]
	v_pk_mul_f32 v[76:77], v[68:69], s[24:25] op_sel_hi:[1,0]
	v_pk_mul_f32 v[38:39], v[38:39], s[26:27] op_sel_hi:[1,0]
	;; [unrolled: 1-line block ×4, first 2 shown]
	v_pk_add_f32 v[52:53], v[34:35], v[74:75]
	v_pk_fma_f32 v[68:69], v[68:69], s[24:25], v[38:39] op_sel_hi:[1,0,1]
	v_pk_fma_f32 v[38:39], v[78:79], s[18:19], v[38:39] op_sel_hi:[1,0,1] neg_lo:[0,0,1] neg_hi:[0,0,1]
	v_pk_fma_f32 v[76:77], v[78:79], s[18:19], v[76:77] op_sel_hi:[1,0,1] neg_lo:[1,0,1] neg_hi:[1,0,1]
	;; [unrolled: 1-line block ×3, first 2 shown]
	v_pk_fma_f32 v[74:75], v[36:37], s[28:29], v[80:81] op_sel_hi:[1,0,1]
	v_pk_fma_f32 v[36:37], v[36:37], s[28:29], v[82:83] op_sel_hi:[1,0,1] neg_lo:[1,0,1] neg_hi:[1,0,1]
	v_pk_fma_f32 v[78:79], v[84:85], s[20:21], v[80:81] op_sel_hi:[1,0,1] neg_lo:[0,0,1] neg_hi:[0,0,1]
	v_pk_add_f32 v[68:69], v[68:69], v[34:35]
	v_pk_add_f32 v[38:39], v[38:39], v[34:35]
	;; [unrolled: 1-line block ×3, first 2 shown]
	v_pk_fma_f32 v[74:75], v[32:33], s[0:1], v[74:75] op_sel_hi:[1,0,1]
	v_pk_fma_f32 v[36:37], v[32:33], s[0:1], v[36:37] op_sel_hi:[1,0,1]
	;; [unrolled: 1-line block ×3, first 2 shown]
	v_pk_add_f32 v[78:79], v[68:69], v[74:75]
	v_pk_add_f32 v[68:69], v[68:69], v[74:75] neg_lo:[0,1] neg_hi:[0,1]
	v_pk_add_f32 v[74:75], v[34:35], v[36:37]
	v_pk_add_f32 v[80:81], v[34:35], v[36:37] neg_lo:[0,1] neg_hi:[0,1]
	v_mov_b32_e32 v34, v74
	v_mov_b32_e32 v35, v81
	;; [unrolled: 1-line block ×3, first 2 shown]
	v_pk_mul_f32 v[74:75], v[42:43], v[20:21] op_sel_hi:[1,0]
	v_pk_add_f32 v[82:83], v[38:39], v[76:77] neg_lo:[0,1] neg_hi:[0,1]
	v_pk_add_f32 v[38:39], v[38:39], v[76:77]
	v_pk_fma_f32 v[76:77], v[42:43], v[20:21], v[74:75] op_sel:[0,1,1] op_sel_hi:[1,1,0]
	v_pk_fma_f32 v[42:43], v[42:43], v[20:21], v[74:75] op_sel:[0,1,1] op_sel_hi:[1,1,0] neg_lo:[1,0,0] neg_hi:[1,0,0]
	v_mov_b32_e32 v74, v49
	v_mov_b32_e32 v75, v44
	;; [unrolled: 1-line block ×10, first 2 shown]
	v_pk_mul_f32 v[44:45], v[48:49], v[44:45]
	v_mov_b32_e32 v42, v31
	v_pk_fma_f32 v[48:49], v[74:75], v[22:23], v[44:45]
	v_pk_fma_f32 v[44:45], v[74:75], v[82:83], v[44:45] neg_lo:[0,0,1] neg_hi:[0,0,1]
	v_mov_b32_e32 v74, v47
	v_mov_b32_e32 v75, v50
	v_mov_b32_e32 v47, v51
	v_mov_b32_e32 v50, v29
	v_mov_b32_e32 v51, v25
	v_mov_b32_e32 v82, v28
	v_mov_b32_e32 v83, v24
	v_pk_mul_f32 v[46:47], v[46:47], v[50:51]
	v_mul_u32_u24_e32 v54, 0x16c, v59
	v_pk_fma_f32 v[50:51], v[74:75], v[28:29], v[46:47]
	v_pk_fma_f32 v[46:47], v[74:75], v[82:83], v[46:47] neg_lo:[0,0,1] neg_hi:[0,0,1]
	v_pk_mul_f32 v[74:75], v[56:57], v[30:31] op_sel_hi:[1,0]
	v_add_lshl_u32 v119, v54, v60, 3
	v_pk_fma_f32 v[82:83], v[56:57], v[42:43], v[74:75] op_sel:[0,0,1] op_sel_hi:[1,0,0]
	v_pk_fma_f32 v[56:57], v[56:57], v[42:43], v[74:75] op_sel:[0,0,1] op_sel_hi:[1,0,0] neg_lo:[1,0,0] neg_hi:[1,0,0]
	v_mov_b32_e32 v77, v43
	v_mov_b32_e32 v49, v45
	v_mov_b32_e32 v51, v47
	v_mov_b32_e32 v83, v57
	v_mov_b32_e32 v54, v43
	v_mov_b32_e32 v66, v57
	v_mov_b32_e32 v32, v78
	v_mov_b32_e32 v33, v69
	v_mov_b32_e32 v78, v68
	v_pk_add_f32 v[68:69], v[70:71], v[72:73]
	v_pk_add_f32 v[74:75], v[76:77], v[82:83]
	v_pk_add_f32 v[76:77], v[76:77], v[82:83] neg_lo:[0,1] neg_hi:[0,1]
	v_pk_add_f32 v[82:83], v[48:49], v[50:51]
	v_pk_add_f32 v[42:43], v[54:55], v[66:67]
	v_pk_add_f32 v[48:49], v[48:49], v[50:51] neg_lo:[0,1] neg_hi:[0,1]
	v_mov_b32_e32 v50, v43
	v_mov_b32_e32 v51, v70
	v_mov_b32_e32 v54, v69
	v_mov_b32_e32 v55, v72
	v_mov_b32_e32 v46, v47
	v_mov_b32_e32 v47, v82
	v_mov_b32_e32 v44, v45
	v_mov_b32_e32 v45, v74
	v_pk_add_f32 v[50:51], v[50:51], v[54:55] neg_lo:[0,1] neg_hi:[0,1]
	v_pk_add_f32 v[72:73], v[68:69], v[42:43]
	v_pk_add_f32 v[44:45], v[46:47], v[44:45]
	v_mov_b32_e32 v66, v50
	v_mov_b32_e32 v67, v77
	;; [unrolled: 1-line block ×7, first 2 shown]
	v_pk_add_f32 v[66:67], v[66:67], v[48:49] neg_lo:[0,1] neg_hi:[0,1]
	s_mov_b32 s31, s28
	v_pk_add_f32 v[46:47], v[46:47], v[68:69] neg_lo:[0,1] neg_hi:[0,1]
	v_mov_b32_e32 v43, v73
	v_mov_b32_e32 v84, v44
	v_mov_b32_e32 v85, v82
	v_pk_add_f32 v[44:45], v[72:73], v[44:45]
	s_mov_b32 s27, s24
	v_pk_add_f32 v[54:55], v[54:55], v[50:51] neg_lo:[0,1] neg_hi:[0,1]
	s_mov_b32 s29, s30
	v_pk_mul_f32 v[66:67], v[66:67], s[30:31]
	v_pk_add_f32 v[70:71], v[48:49], v[50:51]
	v_pk_add_f32 v[84:85], v[42:43], v[84:85] neg_lo:[0,1] neg_hi:[0,1]
	v_pk_add_f32 v[40:41], v[40:41], v[44:45]
	v_pk_mul_f32 v[46:47], v[46:47], s[26:27]
	s_mov_b32 s25, s26
	v_pk_mul_f32 v[56:57], v[54:55], s[28:29]
	v_pk_add_f32 v[70:71], v[70:71], v[76:77]
	v_pk_mul_f32 v[72:73], v[84:85], s[24:25]
	v_pk_fma_f32 v[44:45], v[44:45], s[22:23], v[40:41] op_sel_hi:[1,0,1] neg_lo:[1,0,0] neg_hi:[1,0,0]
	v_pk_fma_f32 v[84:85], v[84:85], s[24:25], v[46:47]
	v_pk_fma_f32 v[54:55], v[54:55], s[28:29], v[66:67]
	v_pk_add_f32 v[84:85], v[84:85], v[44:45]
	v_pk_fma_f32 v[54:55], v[70:71], s[0:1], v[54:55] op_sel_hi:[1,0,1]
	v_mov_b32_e32 v49, v51
	v_pk_add_f32 v[86:87], v[84:85], v[54:55]
	v_pk_add_f32 v[54:55], v[84:85], v[54:55] neg_lo:[0,1] neg_hi:[0,1]
	v_mov_b32_e32 v84, v86
	v_mov_b32_e32 v85, v55
	;; [unrolled: 1-line block ×4, first 2 shown]
	ds_write2_b64 v119, v[40:41], v[84:85] offset1:52
	v_pk_add_f32 v[40:41], v[48:49], v[76:77] neg_lo:[0,1] neg_hi:[0,1]
	v_pk_add_f32 v[42:43], v[68:69], v[42:43] neg_lo:[0,1] neg_hi:[0,1]
	v_mov_b32_e32 v48, v72
	v_mov_b32_e32 v49, v47
	v_mov_b32_e32 v50, v56
	v_mov_b32_e32 v51, v67
	v_mov_b32_e32 v47, v73
	v_mov_b32_e32 v67, v57
	v_pk_fma_f32 v[48:49], v[42:43], s[18:19], v[48:49] op_sel_hi:[1,0,1] neg_lo:[1,0,1] neg_hi:[1,0,1]
	v_pk_fma_f32 v[50:51], v[40:41], s[20:21], v[50:51] op_sel_hi:[1,0,1] neg_lo:[1,0,1] neg_hi:[1,0,1]
	v_pk_fma_f32 v[42:43], v[42:43], s[18:19], v[46:47] op_sel_hi:[1,0,1] neg_lo:[0,0,1] neg_hi:[0,0,1]
	v_pk_fma_f32 v[40:41], v[40:41], s[20:21], v[66:67] op_sel_hi:[1,0,1] neg_lo:[0,0,1] neg_hi:[0,0,1]
	v_pk_add_f32 v[48:49], v[48:49], v[44:45]
	v_pk_fma_f32 v[50:51], v[70:71], s[0:1], v[50:51] op_sel_hi:[1,0,1]
	v_pk_add_f32 v[42:43], v[42:43], v[44:45]
	v_pk_fma_f32 v[40:41], v[70:71], s[0:1], v[40:41] op_sel_hi:[1,0,1]
	v_pk_add_f32 v[68:69], v[48:49], v[50:51]
	v_pk_add_f32 v[48:49], v[48:49], v[50:51] neg_lo:[0,1] neg_hi:[0,1]
	v_pk_add_f32 v[44:45], v[42:43], v[40:41] neg_lo:[0,1] neg_hi:[0,1]
	v_pk_add_f32 v[40:41], v[42:43], v[40:41]
	v_mov_b32_e32 v50, v68
	v_mov_b32_e32 v51, v49
	;; [unrolled: 1-line block ×4, first 2 shown]
	ds_write2_b64 v119, v[50:51], v[42:43] offset0:104 offset1:156
	v_mov_b32_e32 v41, v45
	v_mov_b32_e32 v49, v69
	v_add_u32_e32 v42, 0x400, v119
	v_mov_b32_e32 v55, v87
	ds_write2_b64 v42, v[40:41], v[48:49] offset0:80 offset1:132
	ds_write_b64 v119, v[54:55] offset:2496
	s_and_saveexec_b64 s[0:1], s[2:3]
	s_cbranch_execz .LBB0_11
; %bb.10:
	v_add_u32_e32 v40, 0x2000, v118
	ds_write2_b64 v40, v[52:53], v[32:33] offset0:68 offset1:120
	ds_write2_b64 v40, v[34:35], v[36:37] offset0:172 offset1:224
	v_add_u32_e32 v40, 0x2800, v118
	ds_write2_b64 v40, v[38:39], v[80:81] offset0:20 offset1:72
	ds_write_b64 v118, v[78:79] offset:11232
.LBB0_11:
	s_or_b64 exec, exec, s[0:1]
	v_mov_b32_e32 v59, 0
	s_waitcnt lgkmcnt(0)
	s_barrier
	global_load_dwordx2 v[66:67], v58, s[14:15] offset:2808
	v_lshl_add_u64 v[56:57], s[14:15], 0, v[58:59]
	v_add_co_u32_e32 v82, vcc, 0x1000, v56
	v_add_u32_e32 v60, 0xa00, v58
	s_nop 0
	v_addc_co_u32_e32 v83, vcc, 0, v57, vcc
	global_load_dwordx2 v[68:69], v[82:83], off offset:168
	v_add_u32_e32 v61, 0x2000, v58
	ds_read2_b64 v[40:43], v58 offset1:182
	v_add_u32_e32 v64, 0x1600, v58
	ds_read2_b64 v[44:47], v60 offset0:44 offset1:226
	ds_read2_b64 v[48:51], v61 offset0:68 offset1:250
	;; [unrolled: 1-line block ×3, first 2 shown]
	s_movk_i32 s18, 0x2000
	s_waitcnt lgkmcnt(0)
	s_barrier
	s_movk_i32 s19, 0x1000
	s_waitcnt vmcnt(1)
	v_pk_mul_f32 v[70:71], v[48:49], v[66:67] op_sel:[0,1]
	v_pk_mul_f32 v[72:73], v[52:53], v[66:67] op_sel:[0,1]
	v_pk_fma_f32 v[74:75], v[48:49], v[66:67], v[70:71] op_sel:[0,0,1] op_sel_hi:[1,1,0] neg_lo:[0,0,1] neg_hi:[0,0,1]
	v_pk_fma_f32 v[48:49], v[48:49], v[66:67], v[70:71] op_sel:[0,0,1] op_sel_hi:[1,0,0]
	v_pk_fma_f32 v[70:71], v[52:53], v[66:67], v[72:73] op_sel:[0,0,1] op_sel_hi:[1,1,0] neg_lo:[0,0,1] neg_hi:[0,0,1]
	v_pk_fma_f32 v[52:53], v[52:53], v[66:67], v[72:73] op_sel:[0,0,1] op_sel_hi:[1,0,0]
	v_mov_b32_e32 v75, v49
	v_mov_b32_e32 v71, v53
	v_pk_add_f32 v[52:53], v[40:41], v[70:71] neg_lo:[0,1] neg_hi:[0,1]
	s_waitcnt vmcnt(0)
	v_pk_mul_f32 v[70:71], v[50:51], v[68:69] op_sel:[0,1]
	v_pk_mul_f32 v[72:73], v[54:55], v[68:69] op_sel:[0,1]
	v_pk_add_f32 v[48:49], v[44:45], v[74:75] neg_lo:[0,1] neg_hi:[0,1]
	v_pk_fma_f32 v[74:75], v[50:51], v[68:69], v[70:71] op_sel:[0,0,1] op_sel_hi:[1,1,0] neg_lo:[0,0,1] neg_hi:[0,0,1]
	v_pk_fma_f32 v[50:51], v[50:51], v[68:69], v[70:71] op_sel:[0,0,1] op_sel_hi:[1,0,0]
	v_pk_fma_f32 v[70:71], v[54:55], v[68:69], v[72:73] op_sel:[0,0,1] op_sel_hi:[1,1,0] neg_lo:[0,0,1] neg_hi:[0,0,1]
	v_pk_fma_f32 v[54:55], v[54:55], v[68:69], v[72:73] op_sel:[0,0,1] op_sel_hi:[1,0,0]
	v_mov_b32_e32 v75, v51
	v_mov_b32_e32 v71, v55
	v_pk_fma_f32 v[40:41], v[40:41], 2.0, v[52:53] op_sel_hi:[1,0,1] neg_lo:[0,0,1] neg_hi:[0,0,1]
	v_pk_add_f32 v[50:51], v[46:47], v[74:75] neg_lo:[0,1] neg_hi:[0,1]
	v_pk_add_f32 v[54:55], v[42:43], v[70:71] neg_lo:[0,1] neg_hi:[0,1]
	v_pk_fma_f32 v[44:45], v[44:45], 2.0, v[48:49] op_sel_hi:[1,0,1] neg_lo:[0,0,1] neg_hi:[0,0,1]
	v_pk_fma_f32 v[42:43], v[42:43], 2.0, v[54:55] op_sel_hi:[1,0,1] neg_lo:[0,0,1] neg_hi:[0,0,1]
	ds_write2_b64 v60, v[52:53], v[54:55] offset0:44 offset1:226
	v_pk_fma_f32 v[46:47], v[46:47], 2.0, v[50:51] op_sel_hi:[1,0,1] neg_lo:[0,0,1] neg_hi:[0,0,1]
	ds_write2_b64 v61, v[48:49], v[50:51] offset0:68 offset1:250
	ds_write2_b64 v58, v[40:41], v[42:43] offset1:182
	ds_write2_b64 v64, v[44:45], v[46:47] offset0:24 offset1:206
	v_add_co_u32_e32 v40, vcc, s18, v56
	s_waitcnt lgkmcnt(0)
	s_barrier
	global_load_dwordx2 v[74:75], v[82:83], off offset:1624
	v_addc_co_u32_e32 v41, vcc, 0, v57, vcc
	global_load_dwordx2 v[70:71], v[40:41], off offset:440
	global_load_dwordx2 v[76:77], v[82:83], off offset:3080
	;; [unrolled: 1-line block ×3, first 2 shown]
	ds_read2_b64 v[40:43], v64 offset0:24 offset1:206
	ds_read2_b64 v[44:47], v61 offset0:68 offset1:250
	ds_read2_b64 v[52:55], v58 offset1:182
	ds_read2_b64 v[82:85], v60 offset0:44 offset1:226
	s_waitcnt vmcnt(3)
	v_mov_b32_e32 v48, v75
	s_waitcnt lgkmcnt(3)
	v_pk_mul_f32 v[50:51], v[40:41], v[74:75] op_sel:[1,0] op_sel_hi:[0,1]
	s_waitcnt vmcnt(2)
	v_mov_b32_e32 v56, v71
	s_waitcnt lgkmcnt(2)
	v_pk_mul_f32 v[86:87], v[44:45], v[70:71] op_sel:[1,0] op_sel_hi:[0,1]
	s_waitcnt vmcnt(1)
	v_pk_mul_f32 v[88:89], v[42:43], v[76:77] op_sel:[0,1]
	s_waitcnt vmcnt(0)
	v_pk_mul_f32 v[90:91], v[46:47], v[72:73] op_sel:[0,1]
	v_pk_mul_f32 v[48:49], v[40:41], v[48:49] op_sel:[1,0] op_sel_hi:[0,1]
	v_mov_b32_e32 v51, v50
	v_pk_mul_f32 v[56:57], v[44:45], v[56:57] op_sel:[1,0] op_sel_hi:[0,1]
	v_mov_b32_e32 v87, v86
	v_pk_fma_f32 v[92:93], v[42:43], v[76:77], v[88:89] op_sel:[0,0,1] op_sel_hi:[1,1,0] neg_lo:[0,0,1] neg_hi:[0,0,1]
	v_pk_fma_f32 v[42:43], v[42:43], v[76:77], v[88:89] op_sel:[0,0,1] op_sel_hi:[1,0,0]
	v_pk_fma_f32 v[88:89], v[46:47], v[72:73], v[90:91] op_sel:[0,0,1] op_sel_hi:[1,1,0] neg_lo:[0,0,1] neg_hi:[0,0,1]
	v_pk_fma_f32 v[46:47], v[46:47], v[72:73], v[90:91] op_sel:[0,0,1] op_sel_hi:[1,0,0]
	v_pk_fma_f32 v[48:49], v[40:41], v[74:75], v[48:49] neg_lo:[0,0,1] neg_hi:[0,0,1]
	v_pk_fma_f32 v[40:41], v[40:41], v[74:75], v[50:51] op_sel:[1,0,0] op_sel_hi:[0,1,1]
	v_pk_fma_f32 v[56:57], v[44:45], v[70:71], v[56:57] neg_lo:[0,0,1] neg_hi:[0,0,1]
	v_pk_fma_f32 v[44:45], v[44:45], v[70:71], v[86:87] op_sel:[1,0,0] op_sel_hi:[0,1,1]
	v_mov_b32_e32 v93, v43
	v_mov_b32_e32 v89, v47
	;; [unrolled: 1-line block ×3, first 2 shown]
	s_waitcnt lgkmcnt(1)
	v_pk_add_f32 v[46:47], v[54:55], v[92:93] neg_lo:[0,1] neg_hi:[0,1]
	v_mov_b32_e32 v57, v45
	s_waitcnt lgkmcnt(0)
	v_pk_add_f32 v[50:51], v[84:85], v[88:89] neg_lo:[0,1] neg_hi:[0,1]
	v_pk_add_f32 v[42:43], v[52:53], v[48:49] neg_lo:[0,1] neg_hi:[0,1]
	v_pk_fma_f32 v[44:45], v[54:55], 2.0, v[46:47] op_sel_hi:[1,0,1] neg_lo:[0,0,1] neg_hi:[0,0,1]
	v_pk_add_f32 v[54:55], v[82:83], v[56:57] neg_lo:[0,1] neg_hi:[0,1]
	v_pk_fma_f32 v[48:49], v[84:85], 2.0, v[50:51] op_sel_hi:[1,0,1] neg_lo:[0,0,1] neg_hi:[0,0,1]
	v_pk_fma_f32 v[40:41], v[52:53], 2.0, v[42:43] op_sel_hi:[1,0,1] neg_lo:[0,0,1] neg_hi:[0,0,1]
	;; [unrolled: 1-line block ×3, first 2 shown]
	ds_write2_b64 v64, v[42:43], v[46:47] offset0:24 offset1:206
	ds_write2_b64 v61, v[54:55], v[50:51] offset0:68 offset1:250
	ds_write2_b64 v58, v[40:41], v[44:45] offset1:182
	ds_write2_b64 v60, v[52:53], v[48:49] offset0:44 offset1:226
	s_waitcnt lgkmcnt(0)
	s_barrier
	s_and_saveexec_b64 s[0:1], s[6:7]
	s_cbranch_execz .LBB0_13
; %bb.12:
	s_add_u32 s14, s12, 0x2d80
	s_addc_u32 s15, s13, 0
	ds_read_b64 v[56:57], v58
	global_load_dwordx2 v[82:83], v58, s[14:15]
	v_lshl_add_u64 v[86:87], s[14:15], 0, v[58:59]
	s_waitcnt vmcnt(0) lgkmcnt(0)
	v_mul_f32_e32 v59, v57, v83
	v_mul_f32_e32 v85, v56, v83
	v_fma_f32 v84, v56, v82, -v59
	v_fmac_f32_e32 v85, v57, v82
	global_load_dwordx2 v[56:57], v58, s[14:15] offset:896
	ds_write_b64 v58, v[84:85]
	ds_read2_b64 v[82:85], v58 offset0:112 offset1:224
	s_waitcnt vmcnt(0) lgkmcnt(0)
	v_mul_f32_e32 v59, v83, v57
	v_mul_f32_e32 v89, v82, v57
	v_fma_f32 v88, v82, v56, -v59
	v_fmac_f32_e32 v89, v83, v56
	global_load_dwordx2 v[56:57], v58, s[14:15] offset:1792
	s_waitcnt vmcnt(0)
	v_mul_f32_e32 v59, v85, v57
	v_mul_f32_e32 v83, v84, v57
	v_fma_f32 v82, v84, v56, -v59
	v_fmac_f32_e32 v83, v85, v56
	global_load_dwordx2 v[56:57], v58, s[14:15] offset:2688
	v_add_u32_e32 v59, 0x800, v58
	ds_write2_b64 v58, v[88:89], v[82:83] offset0:112 offset1:224
	ds_read2_b64 v[82:85], v59 offset0:80 offset1:192
	s_waitcnt vmcnt(0) lgkmcnt(0)
	v_mul_f32_e32 v60, v83, v57
	v_mul_f32_e32 v89, v82, v57
	v_fma_f32 v88, v82, v56, -v60
	v_fmac_f32_e32 v89, v83, v56
	global_load_dwordx2 v[56:57], v58, s[14:15] offset:3584
	s_waitcnt vmcnt(0)
	v_mul_f32_e32 v60, v85, v57
	v_mul_f32_e32 v83, v84, v57
	v_fma_f32 v82, v84, v56, -v60
	v_fmac_f32_e32 v83, v85, v56
	v_add_co_u32_e32 v56, vcc, s19, v86
	ds_write2_b64 v59, v[88:89], v[82:83] offset0:80 offset1:192
	s_nop 0
	v_addc_co_u32_e32 v57, vcc, 0, v87, vcc
	global_load_dwordx2 v[88:89], v[56:57], off offset:384
	v_add_u32_e32 v59, 0x1000, v58
	ds_read2_b64 v[82:85], v59 offset0:48 offset1:160
	s_waitcnt vmcnt(0) lgkmcnt(0)
	v_mul_f32_e32 v60, v83, v89
	v_mul_f32_e32 v91, v82, v89
	v_fma_f32 v90, v82, v88, -v60
	v_fmac_f32_e32 v91, v83, v88
	global_load_dwordx2 v[82:83], v[56:57], off offset:1280
	s_waitcnt vmcnt(0)
	v_mul_f32_e32 v60, v85, v83
	v_mul_f32_e32 v89, v84, v83
	v_fma_f32 v88, v84, v82, -v60
	v_fmac_f32_e32 v89, v85, v82
	ds_write2_b64 v59, v[90:91], v[88:89] offset0:48 offset1:160
	global_load_dwordx2 v[88:89], v[56:57], off offset:2176
	v_add_u32_e32 v59, 0x1800, v58
	ds_read2_b64 v[82:85], v59 offset0:16 offset1:128
	global_load_dwordx2 v[56:57], v[56:57], off offset:3968
	s_waitcnt vmcnt(1) lgkmcnt(0)
	v_mul_f32_e32 v60, v83, v89
	v_fma_f32 v90, v82, v88, -v60
	v_mul_f32_e32 v91, v82, v89
	v_or_b32_e32 v60, 0x1c00, v58
	v_fmac_f32_e32 v91, v83, v88
	global_load_dwordx2 v[82:83], v60, s[14:15]
	s_waitcnt vmcnt(0)
	v_mul_f32_e32 v60, v85, v83
	v_mul_f32_e32 v89, v84, v83
	v_fma_f32 v88, v84, v82, -v60
	v_fmac_f32_e32 v89, v85, v82
	ds_write2_b64 v59, v[90:91], v[88:89] offset0:16 offset1:128
	v_add_u32_e32 v59, 0x1c00, v58
	ds_read2_b64 v[82:85], v59 offset0:112 offset1:224
	s_waitcnt lgkmcnt(0)
	v_mul_f32_e32 v60, v83, v57
	v_mul_f32_e32 v89, v82, v57
	v_fma_f32 v88, v82, v56, -v60
	v_fmac_f32_e32 v89, v83, v56
	v_add_co_u32_e32 v56, vcc, s18, v86
	s_nop 1
	v_addc_co_u32_e32 v57, vcc, 0, v87, vcc
	global_load_dwordx2 v[82:83], v[56:57], off offset:768
	s_waitcnt vmcnt(0)
	v_mul_f32_e32 v60, v85, v83
	v_mul_f32_e32 v87, v84, v83
	v_fma_f32 v86, v84, v82, -v60
	v_fmac_f32_e32 v87, v85, v82
	ds_write2_b64 v59, v[88:89], v[86:87] offset0:112 offset1:224
	global_load_dwordx2 v[86:87], v[56:57], off offset:1664
	v_add_u32_e32 v59, 0x2400, v58
	global_load_dwordx2 v[56:57], v[56:57], off offset:2560
	ds_read2_b64 v[82:85], v59 offset0:80 offset1:192
	s_waitcnt vmcnt(1) lgkmcnt(0)
	v_mul_f32_e32 v60, v83, v87
	v_mul_f32_e32 v89, v82, v87
	v_fma_f32 v88, v82, v86, -v60
	v_fmac_f32_e32 v89, v83, v86
	s_waitcnt vmcnt(0)
	v_mul_f32_e32 v60, v85, v57
	v_mul_f32_e32 v83, v84, v57
	v_fma_f32 v82, v84, v56, -v60
	v_fmac_f32_e32 v83, v85, v56
	ds_write2_b64 v59, v[88:89], v[82:83] offset0:80 offset1:192
.LBB0_13:
	s_or_b64 exec, exec, s[0:1]
	s_waitcnt lgkmcnt(0)
	s_barrier
	s_and_saveexec_b64 s[0:1], s[6:7]
	s_cbranch_execz .LBB0_15
; %bb.14:
	v_add_u32_e32 v32, 0x400, v58
	ds_read2_b64 v[44:47], v32 offset0:96 offset1:208
	v_add_u32_e32 v32, 0xc00, v58
	ds_read2_b64 v[52:55], v32 offset0:64 offset1:176
	v_add_u32_e32 v32, 0x1400, v58
	ds_read2_b64 v[48:51], v32 offset0:32 offset1:144
	v_add_u32_e32 v32, 0x1800, v58
	v_add_u32_e32 v36, 0x2000, v58
	ds_read2_b64 v[40:43], v58 offset1:112
	ds_read2_b64 v[32:35], v32 offset0:128 offset1:240
	ds_read2_b64 v[36:39], v36 offset0:96 offset1:208
	ds_read_b64 v[80:81], v58 offset:10752
.LBB0_15:
	s_or_b64 exec, exec, s[0:1]
	s_waitcnt lgkmcnt(0)
	v_pk_add_f32 v[56:57], v[42:43], v[80:81] neg_lo:[0,1] neg_hi:[0,1]
	v_pk_add_f32 v[102:103], v[42:43], v[80:81]
	v_mov_b32_e32 v89, v56
	v_mov_b32_e32 v88, v102
	v_mov_b32_e32 v102, v57
	v_pk_add_f32 v[56:57], v[44:45], v[38:39] neg_lo:[0,1] neg_hi:[0,1]
	v_pk_add_f32 v[104:105], v[44:45], v[38:39]
	v_mov_b32_e32 v91, v56
	v_mov_b32_e32 v90, v104
	v_mov_b32_e32 v104, v57
	;; [unrolled: 5-line block ×3, first 2 shown]
	v_pk_add_f32 v[56:57], v[52:53], v[34:35] neg_lo:[0,1] neg_hi:[0,1]
	v_pk_add_f32 v[110:111], v[54:55], v[32:33]
	v_mov_b32_e32 v95, v56
	v_mov_b32_e32 v108, v57
	v_pk_add_f32 v[56:57], v[54:55], v[32:33] neg_lo:[0,1] neg_hi:[0,1]
	s_mov_b32 s15, 0x3f62ad3f
	s_mov_b32 s14, 0xbeedf032
	;; [unrolled: 1-line block ×3, first 2 shown]
	v_mov_b32_e32 v96, v110
	v_mov_b32_e32 v97, v56
	;; [unrolled: 1-line block ×3, first 2 shown]
	v_pk_add_f32 v[56:57], v[48:49], v[50:51] neg_lo:[0,1] neg_hi:[0,1]
	v_pk_add_f32 v[112:113], v[48:49], v[50:51]
	v_pk_mul_f32 v[246:247], v[102:103], s[14:15]
	s_mov_b32 s42, s15
	s_mov_b32 s43, s14
	;; [unrolled: 1-line block ×3, first 2 shown]
	v_mov_b32_e32 v98, v112
	v_mov_b32_e32 v99, v56
	;; [unrolled: 1-line block ×3, first 2 shown]
	v_pk_fma_f32 v[56:57], v[88:89], s[42:43], v[246:247] neg_lo:[0,0,1] neg_hi:[0,0,1]
	v_pk_fma_f32 v[116:117], v[88:89], s[42:43], v[246:247]
	v_pk_mul_f32 v[122:123], v[104:105], s[46:47]
	s_mov_b32 s36, s47
	s_mov_b32 s37, s46
	;; [unrolled: 1-line block ×3, first 2 shown]
	v_mov_b32_e32 v57, v117
	v_pk_fma_f32 v[82:83], v[90:91], s[36:37], v[122:123] neg_lo:[0,0,1] neg_hi:[0,0,1]
	v_pk_fma_f32 v[120:121], v[90:91], s[36:37], v[122:123]
	s_mov_b32 s35, 0x3df6dbef
	v_pk_add_f32 v[84:85], v[52:53], v[34:35]
	v_pk_add_f32 v[56:57], v[40:41], v[56:57]
	v_mov_b32_e32 v83, v121
	v_pk_mul_f32 v[254:255], v[106:107], s[34:35]
	s_mov_b32 s44, s35
	s_mov_b32 s45, s34
	;; [unrolled: 1-line block ×3, first 2 shown]
	v_mov_b32_e32 v109, v85
	v_pk_add_f32 v[56:57], v[82:83], v[56:57]
	v_pk_fma_f32 v[82:83], v[92:93], s[44:45], v[254:255] neg_lo:[0,0,1] neg_hi:[0,0,1]
	v_pk_fma_f32 v[124:125], v[92:93], s[44:45], v[254:255]
	s_mov_b32 s23, 0xbeb58ec6
	v_mov_b32_e32 v94, v84
	v_mov_b32_e32 v83, v125
	v_pk_mul_f32 v[250:251], v[108:109], s[22:23]
	s_mov_b32 s0, s23
	s_mov_b32 s1, s22
	;; [unrolled: 1-line block ×3, first 2 shown]
	v_pk_add_f32 v[56:57], v[82:83], v[56:57]
	v_pk_fma_f32 v[82:83], v[94:95], s[0:1], v[250:251] neg_lo:[0,0,1] neg_hi:[0,0,1]
	v_pk_fma_f32 v[128:129], v[94:95], s[0:1], v[250:251]
	s_mov_b32 s25, 0xbf3f9e67
	v_mov_b32_e32 v83, v129
	v_pk_mul_f32 v[130:131], v[110:111], s[24:25]
	s_mov_b32 s18, s25
	s_mov_b32 s19, s24
	v_pk_add_f32 v[56:57], v[82:83], v[56:57]
	v_pk_fma_f32 v[82:83], v[96:97], s[18:19], v[130:131] neg_lo:[0,0,1] neg_hi:[0,0,1]
	v_pk_fma_f32 v[132:133], v[96:97], s[18:19], v[130:131]
	s_mov_b32 s28, 0xbe750f2a
	v_mov_b32_e32 v83, v133
	s_mov_b32 s29, 0xbf788fa5
	v_pk_mul_f32 v[142:143], v[102:103], s[34:35]
	v_pk_add_f32 v[56:57], v[82:83], v[56:57]
	s_mov_b32 s20, s29
	s_mov_b32 s21, s28
	v_pk_fma_f32 v[82:83], v[88:89], s[44:45], v[142:143] neg_lo:[0,0,1] neg_hi:[0,0,1]
	v_pk_fma_f32 v[140:141], v[88:89], s[44:45], v[142:143]
	v_pk_mul_f32 v[146:147], v[104:105], s[28:29]
	v_mov_b32_e32 v83, v141
	v_pk_fma_f32 v[86:87], v[90:91], s[20:21], v[146:147] neg_lo:[0,0,1] neg_hi:[0,0,1]
	v_pk_fma_f32 v[144:145], v[90:91], s[20:21], v[146:147]
	s_mov_b32 s30, 0x3f6f5d39
	s_mov_b32 s31, s23
	v_pk_add_f32 v[82:83], v[40:41], v[82:83]
	v_mov_b32_e32 v87, v145
	v_pk_mul_f32 v[150:151], v[106:107], s[30:31]
	s_mov_b32 s50, s23
	s_mov_b32 s51, s30
	;; [unrolled: 1-line block ×3, first 2 shown]
	v_pk_add_f32 v[82:83], v[86:87], v[82:83]
	v_pk_fma_f32 v[86:87], v[92:93], s[50:51], v[150:151] neg_lo:[0,0,1] neg_hi:[0,0,1]
	v_pk_fma_f32 v[152:153], v[92:93], s[50:51], v[150:151]
	s_mov_b32 s26, s15
	s_mov_b32 s27, s14
	v_mov_b32_e32 v87, v153
	v_pk_mul_f32 v[160:161], v[108:109], s[14:15]
	v_pk_add_f32 v[82:83], v[86:87], v[82:83]
	v_pk_fma_f32 v[86:87], v[94:95], s[26:27], v[160:161] neg_lo:[0,0,1] neg_hi:[0,0,1]
	v_pk_fma_f32 v[158:159], v[94:95], s[26:27], v[160:161]
	v_pk_mul_f32 v[168:169], v[110:111], s[46:47]
	v_mov_b32_e32 v87, v159
	v_pk_add_f32 v[82:83], v[86:87], v[82:83]
	v_pk_fma_f32 v[86:87], v[96:97], s[36:37], v[168:169] neg_lo:[0,0,1] neg_hi:[0,0,1]
	v_pk_fma_f32 v[166:167], v[96:97], s[36:37], v[168:169]
	v_pk_mul_f32 v[176:177], v[112:113], s[24:25]
	v_mov_b32_e32 v87, v167
	v_pk_add_f32 v[82:83], v[86:87], v[82:83]
	v_pk_fma_f32 v[86:87], v[98:99], s[18:19], v[176:177] neg_lo:[0,0,1] neg_hi:[0,0,1]
	v_pk_fma_f32 v[174:175], v[98:99], s[18:19], v[176:177]
	s_mov_b32 s52, 0x3f29c268
	s_mov_b32 s53, s25
	v_mov_b32_e32 v87, v175
	v_pk_mul_f32 v[156:157], v[102:103], s[22:23]
	s_mov_b32 s48, s25
	s_mov_b32 s49, s52
	v_pk_add_f32 v[60:61], v[86:87], v[82:83]
	v_pk_fma_f32 v[82:83], v[88:89], s[0:1], v[156:157] neg_lo:[0,0,1] neg_hi:[0,0,1]
	v_pk_fma_f32 v[154:155], v[88:89], s[0:1], v[156:157]
	v_pk_mul_f32 v[164:165], v[104:105], s[52:53]
	v_mov_b32_e32 v83, v155
	v_pk_fma_f32 v[86:87], v[90:91], s[48:49], v[164:165] neg_lo:[0,0,1] neg_hi:[0,0,1]
	v_pk_fma_f32 v[162:163], v[90:91], s[48:49], v[164:165]
	v_pk_add_f32 v[82:83], v[40:41], v[82:83]
	v_mov_b32_e32 v87, v163
	v_pk_mul_f32 v[172:173], v[106:107], s[14:15]
	v_pk_add_f32 v[82:83], v[86:87], v[82:83]
	v_pk_fma_f32 v[86:87], v[92:93], s[26:27], v[172:173] neg_lo:[0,0,1] neg_hi:[0,0,1]
	v_pk_fma_f32 v[170:171], v[92:93], s[26:27], v[172:173]
	v_pk_mul_f32 v[180:181], v[108:109], s[34:35]
	v_mov_b32_e32 v87, v171
	v_pk_add_f32 v[82:83], v[86:87], v[82:83]
	v_pk_fma_f32 v[86:87], v[94:95], s[44:45], v[180:181] neg_lo:[0,0,1] neg_hi:[0,0,1]
	v_pk_fma_f32 v[178:179], v[94:95], s[44:45], v[180:181]
	s_mov_b32 s56, 0x3e750f2a
	s_mov_b32 s57, s29
	v_mov_b32_e32 v87, v179
	s_mov_b32 s54, s29
	s_mov_b32 s55, s56
	v_pk_mul_f32 v[184:185], v[110:111], s[56:57]
	v_pk_add_f32 v[82:83], v[86:87], v[82:83]
	v_pk_fma_f32 v[86:87], v[96:97], s[54:55], v[184:185] neg_lo:[0,0,1] neg_hi:[0,0,1]
	v_pk_fma_f32 v[182:183], v[96:97], s[54:55], v[184:185]
	s_mov_b32 s38, 0x3f52af12
	s_mov_b32 s39, s47
	v_mov_b32_e32 v87, v183
	s_mov_b32 s30, s47
	s_mov_b32 s31, s38
	v_pk_mul_f32 v[188:189], v[112:113], s[38:39]
	v_pk_add_f32 v[82:83], v[86:87], v[82:83]
	v_pk_fma_f32 v[86:87], v[98:99], s[30:31], v[188:189] neg_lo:[0,0,1] neg_hi:[0,0,1]
	v_pk_fma_f32 v[186:187], v[98:99], s[30:31], v[188:189]
	s_mov_b32 s40, 0x3f7e222b
	v_mov_b32_e32 v87, v187
	s_mov_b32 s41, s35
	v_pk_mul_f32 v[206:207], v[102:103], s[46:47]
	v_pk_mul_f32 v[216:217], v[102:103], s[24:25]
	v_pk_add_f32 v[244:245], v[86:87], v[82:83]
	s_mov_b32 s34, s35
	s_mov_b32 s35, s40
	v_pk_fma_f32 v[196:197], v[88:89], s[36:37], v[206:207]
	v_pk_fma_f32 v[86:87], v[88:89], s[18:19], v[216:217] neg_lo:[0,0,1] neg_hi:[0,0,1]
	v_pk_mul_f32 v[210:211], v[104:105], s[22:23]
	v_pk_mul_f32 v[218:219], v[104:105], s[40:41]
	v_mov_b32_e32 v87, v197
	v_pk_fma_f32 v[200:201], v[90:91], s[0:1], v[210:211]
	v_pk_fma_f32 v[134:135], v[90:91], s[34:35], v[218:219] neg_lo:[0,0,1] neg_hi:[0,0,1]
	v_pk_add_f32 v[86:87], v[40:41], v[86:87]
	v_mov_b32_e32 v135, v201
	v_pk_mul_f32 v[214:215], v[106:107], s[28:29]
	v_pk_mul_f32 v[220:221], v[106:107], s[46:47]
	v_pk_add_f32 v[86:87], v[134:135], v[86:87]
	v_pk_fma_f32 v[202:203], v[92:93], s[20:21], v[214:215]
	v_pk_fma_f32 v[134:135], v[92:93], s[36:37], v[220:221] neg_lo:[0,0,1] neg_hi:[0,0,1]
	v_pk_mul_f32 v[222:223], v[108:109], s[56:57]
	v_mov_b32_e32 v135, v203
	s_mov_b32 s57, s25
	v_pk_add_f32 v[86:87], v[134:135], v[86:87]
	s_mov_b32 s46, s29
	s_mov_b32 s47, s52
	v_pk_mul_f32 v[134:135], v[108:109], s[56:57]
	v_pk_fma_f32 v[190:191], v[88:89], s[18:19], v[216:217]
	v_pk_fma_f32 v[84:85], v[84:85], s[46:47], v[134:135] neg_lo:[0,0,1] neg_hi:[0,0,1]
	v_pk_fma_f32 v[134:135], v[94:95], s[46:47], v[134:135]
	v_pk_fma_f32 v[192:193], v[90:91], s[34:35], v[218:219]
	v_mov_b32_e32 v85, v135
	v_pk_add_f32 v[84:85], v[84:85], v[86:87]
	v_pk_fma_f32 v[86:87], v[88:89], s[36:37], v[206:207] neg_lo:[0,0,1] neg_hi:[0,0,1]
	v_pk_fma_f32 v[134:135], v[90:91], s[0:1], v[210:211] neg_lo:[0,0,1] neg_hi:[0,0,1]
	v_mov_b32_e32 v87, v191
	v_pk_add_f32 v[86:87], v[40:41], v[86:87]
	v_mov_b32_e32 v135, v193
	v_pk_add_f32 v[86:87], v[134:135], v[86:87]
	v_pk_fma_f32 v[134:135], v[92:93], s[20:21], v[214:215] neg_lo:[0,0,1] neg_hi:[0,0,1]
	v_pk_fma_f32 v[194:195], v[92:93], s[36:37], v[220:221]
	v_pk_mul_f32 v[224:225], v[94:95], s[48:49]
	v_mov_b32_e32 v135, v195
	v_pk_mul_f32 v[236:237], v[94:95], s[54:55]
	v_pk_mul_f32 v[226:227], v[108:109], s[52:53]
	v_pk_add_f32 v[86:87], v[134:135], v[86:87]
	v_mov_b32_e32 v134, v237
	v_mov_b32_e32 v135, v224
	;; [unrolled: 1-line block ×4, first 2 shown]
	v_pk_add_f32 v[138:139], v[134:135], v[136:137]
	v_pk_add_f32 v[134:135], v[134:135], v[136:137] neg_lo:[0,1] neg_hi:[0,1]
	v_pk_mul_f32 v[232:233], v[110:111], s[40:41]
	v_pk_mul_f32 v[238:239], v[110:111], s[14:15]
	v_mov_b32_e32 v139, v135
	v_pk_fma_f32 v[208:209], v[96:97], s[34:35], v[232:233]
	v_pk_fma_f32 v[134:135], v[96:97], s[26:27], v[238:239] neg_lo:[0,0,1] neg_hi:[0,0,1]
	v_pk_fma_f32 v[198:199], v[96:97], s[26:27], v[238:239]
	v_mov_b32_e32 v135, v209
	v_pk_add_f32 v[84:85], v[134:135], v[84:85]
	v_pk_fma_f32 v[134:135], v[96:97], s[34:35], v[232:233] neg_lo:[0,0,1] neg_hi:[0,0,1]
	v_pk_add_f32 v[86:87], v[138:139], v[86:87] op_sel:[0,1] op_sel_hi:[1,0]
	v_mov_b32_e32 v135, v134
	v_mov_b32_e32 v134, v199
	v_pk_mul_f32 v[234:235], v[112:113], s[14:15]
	v_pk_mul_f32 v[240:241], v[112:113], s[22:23]
	v_pk_add_f32 v[86:87], v[134:135], v[86:87]
	v_pk_fma_f32 v[212:213], v[98:99], s[26:27], v[234:235]
	v_pk_fma_f32 v[134:135], v[98:99], s[0:1], v[240:241] neg_lo:[0,0,1] neg_hi:[0,0,1]
	v_pk_mul_f32 v[230:231], v[112:113], s[28:29]
	v_mov_b32_e32 v135, v213
	v_pk_add_f32 v[84:85], v[134:135], v[84:85]
	v_pk_fma_f32 v[134:135], v[98:99], s[26:27], v[234:235] neg_lo:[0,0,1] neg_hi:[0,0,1]
	v_pk_fma_f32 v[204:205], v[98:99], s[0:1], v[240:241]
	v_pk_fma_f32 v[248:249], v[98:99], s[20:21], v[230:231] neg_lo:[0,0,1] neg_hi:[0,0,1]
	v_pk_fma_f32 v[228:229], v[98:99], s[20:21], v[230:231]
	v_mov_b32_e32 v135, v134
	v_mov_b32_e32 v134, v205
	;; [unrolled: 1-line block ×3, first 2 shown]
	v_pk_add_f32 v[86:87], v[134:135], v[86:87]
	v_mov_b32_e32 v148, v18
	v_mov_b32_e32 v149, v18
	;; [unrolled: 1-line block ×12, first 2 shown]
	v_pk_add_f32 v[56:57], v[248:249], v[56:57]
	s_barrier
	s_and_saveexec_b64 s[46:47], s[6:7]
	s_cbranch_execz .LBB0_17
; %bb.16:
	v_pk_mul_f32 v[82:83], v[94:95], s[0:1]
	v_pk_add_f32 v[42:43], v[42:43], v[40:41]
	v_accvgpr_write_b32 a40, v82
	v_accvgpr_write_b32 a41, v83
	v_pk_mul_f32 v[82:83], v[96:97], s[18:19]
	v_pk_add_f32 v[42:43], v[44:45], v[42:43]
	v_accvgpr_write_b32 a36, v82
	v_accvgpr_write_b32 a37, v83
	;; [unrolled: 4-line block ×7, first 2 shown]
	v_pk_mul_f32 v[82:83], v[96:97], s[36:37]
	v_accvgpr_write_b32 a38, v250
	v_accvgpr_write_b32 a24, v82
	;; [unrolled: 1-line block ×3, first 2 shown]
	v_pk_mul_f32 v[82:83], v[98:99], s[18:19]
	v_accvgpr_write_b32 a8, v60
	v_accvgpr_write_b32 a22, v82
	;; [unrolled: 1-line block ×3, first 2 shown]
	v_pk_mul_f32 v[82:83], v[88:89], s[0:1]
	v_accvgpr_write_b32 a2, v114
	v_accvgpr_write_b32 a20, v82
	v_pk_add_f32 v[32:33], v[32:33], v[42:43]
	v_accvgpr_write_b32 a39, v251
	v_pk_mul_f32 v[250:251], v[90:91], s[36:37]
	v_accvgpr_write_b32 a9, v61
	v_pk_mul_f32 v[60:61], v[88:89], s[36:37]
	v_mov_b64_e32 v[126:127], v[122:123]
	v_accvgpr_write_b32 a21, v83
	v_pk_mul_f32 v[82:83], v[90:91], s[48:49]
	v_accvgpr_write_b32 a3, v115
	v_pk_mul_f32 v[114:115], v[88:89], s[18:19]
	v_pk_add_f32 v[32:33], v[34:35], v[32:33]
	v_pk_mul_f32 v[252:253], v[92:93], s[44:45]
	v_mov_b32_e32 v117, v100
	v_mov_b32_e32 v121, v101
	v_pk_mul_f32 v[100:101], v[90:91], s[0:1]
	v_accvgpr_write_b32 a18, v82
	v_mov_b32_e32 v125, v118
	v_mov_b32_e32 v129, v119
	v_pk_mul_f32 v[118:119], v[90:91], s[34:35]
	v_pk_add_f32 v[114:115], v[216:217], v[114:115] neg_lo:[0,1] neg_hi:[0,1]
	v_pk_add_f32 v[60:61], v[206:207], v[60:61] neg_lo:[0,1] neg_hi:[0,1]
	v_pk_add_f32 v[32:33], v[36:37], v[32:33]
	v_pk_add_f32 v[36:37], v[126:127], v[250:251] neg_lo:[0,1] neg_hi:[0,1]
	v_accvgpr_write_b32 a19, v83
	v_pk_mul_f32 v[82:83], v[92:93], s[26:27]
	v_accvgpr_write_b32 a6, v244
	v_mov_b32_e32 v191, v115
	v_pk_add_f32 v[114:115], v[218:219], v[118:119] neg_lo:[0,1] neg_hi:[0,1]
	v_pk_add_f32 v[118:119], v[222:223], v[236:237] neg_lo:[0,1] neg_hi:[0,1]
	v_mov_b32_e32 v197, v61
	v_pk_add_f32 v[60:61], v[210:211], v[100:101] neg_lo:[0,1] neg_hi:[0,1]
	v_mov_b32_e32 v101, v121
	v_mov_b32_e32 v121, v37
	v_pk_add_f32 v[36:37], v[254:255], v[252:253] neg_lo:[0,1] neg_hi:[0,1]
	v_accvgpr_write_b32 a16, v82
	v_accvgpr_write_b32 a7, v245
	v_pk_mul_f32 v[244:245], v[92:93], s[36:37]
	v_mov_b32_e32 v118, v125
	v_pk_add_f32 v[32:33], v[38:39], v[32:33]
	v_mov_b32_e32 v125, v37
	v_accvgpr_read_b32 v36, a38
	v_accvgpr_read_b32 v38, a40
	v_accvgpr_write_b32 a17, v83
	v_pk_mul_f32 v[82:83], v[94:95], s[44:45]
	v_mov_b32_e32 v193, v115
	v_pk_add_f32 v[114:115], v[220:221], v[244:245] neg_lo:[0,1] neg_hi:[0,1]
	v_accvgpr_read_b32 v37, a39
	v_accvgpr_read_b32 v39, a41
	v_accvgpr_write_b32 a14, v82
	v_mov_b32_e32 v195, v115
	v_pk_add_f32 v[114:115], v[222:223], v[236:237]
	v_pk_add_f32 v[36:37], v[36:37], v[38:39] neg_lo:[0,1] neg_hi:[0,1]
	v_accvgpr_write_b32 a15, v83
	v_pk_mul_f32 v[82:83], v[96:97], s[54:55]
	v_mov_b32_e32 v115, v119
	v_mov_b32_e32 v119, v129
	;; [unrolled: 1-line block ×3, first 2 shown]
	v_accvgpr_read_b32 v36, a36
	v_accvgpr_write_b32 a12, v82
	v_accvgpr_read_b32 v37, a37
	v_accvgpr_write_b32 a13, v83
	v_pk_mul_f32 v[82:83], v[98:99], s[30:31]
	v_pk_add_f32 v[36:37], v[130:131], v[36:37] neg_lo:[0,1] neg_hi:[0,1]
	v_accvgpr_write_b32 a10, v82
	v_mov_b32_e32 v133, v37
	v_accvgpr_read_b32 v37, a35
	v_pk_mul_f32 v[248:249], v[88:89], s[42:43]
	v_mov_b64_e32 v[122:123], v[246:247]
	v_accvgpr_write_b32 a11, v83
	v_pk_mul_f32 v[82:83], v[96:97], s[26:27]
	v_accvgpr_read_b32 v36, a34
	v_accvgpr_write_b32 a0, v242
	v_mov_b32_e32 v59, v243
	v_pk_mul_f32 v[242:243], v[98:99], s[0:1]
	v_pk_add_f32 v[82:83], v[238:239], v[82:83] neg_lo:[0,1] neg_hi:[0,1]
	v_pk_add_f32 v[34:35], v[122:123], v[248:249] neg_lo:[0,1] neg_hi:[0,1]
	;; [unrolled: 1-line block ×3, first 2 shown]
	v_mov_b32_e32 v199, v83
	v_pk_add_f32 v[82:83], v[240:241], v[242:243] neg_lo:[0,1] neg_hi:[0,1]
	v_mov_b32_e32 v243, v59
	v_lshlrev_b32_e32 v59, 3, v117
	v_mov_b32_e32 v117, v35
	v_mov_b32_e32 v229, v37
	v_accvgpr_read_b32 v37, a31
	v_pk_add_f32 v[34:35], v[40:41], v[116:117]
	v_accvgpr_read_b32 v36, a30
	v_pk_add_f32 v[34:35], v[120:121], v[34:35]
	v_pk_add_f32 v[36:37], v[146:147], v[36:37] neg_lo:[0,1] neg_hi:[0,1]
	v_pk_add_f32 v[34:35], v[124:125], v[34:35]
	v_mov_b32_e32 v145, v37
	v_accvgpr_read_b32 v37, a29
	v_pk_add_f32 v[34:35], v[128:129], v[34:35]
	v_accvgpr_read_b32 v36, a28
	v_pk_add_f32 v[34:35], v[132:133], v[34:35]
	v_pk_add_f32 v[36:37], v[150:151], v[36:37] neg_lo:[0,1] neg_hi:[0,1]
	v_pk_add_f32 v[32:33], v[80:81], v[32:33]
	v_pk_add_f32 v[34:35], v[228:229], v[34:35]
	v_mov_b32_e32 v153, v37
	v_accvgpr_read_b32 v37, a27
	ds_write2_b64 v59, v[32:33], v[34:35] offset1:1
	v_accvgpr_read_b32 v35, a33
	v_accvgpr_read_b32 v36, a26
	;; [unrolled: 1-line block ×3, first 2 shown]
	v_pk_add_f32 v[36:37], v[160:161], v[36:37] neg_lo:[0,1] neg_hi:[0,1]
	v_pk_add_f32 v[34:35], v[142:143], v[34:35] neg_lo:[0,1] neg_hi:[0,1]
	v_mov_b32_e32 v159, v37
	v_accvgpr_read_b32 v37, a25
	v_pk_mul_f32 v[246:247], v[92:93], s[20:21]
	v_mov_b32_e32 v141, v35
	v_accvgpr_read_b32 v36, a24
	v_accvgpr_write_b32 a4, v78
	v_mov_b32_e32 v201, v61
	v_pk_add_f32 v[60:61], v[214:215], v[246:247] neg_lo:[0,1] neg_hi:[0,1]
	v_pk_add_f32 v[32:33], v[40:41], v[196:197]
	v_pk_add_f32 v[34:35], v[40:41], v[140:141]
	v_pk_add_f32 v[36:37], v[168:169], v[36:37] neg_lo:[0,1] neg_hi:[0,1]
	v_accvgpr_write_b32 a5, v79
	v_pk_mul_f32 v[78:79], v[96:97], s[34:35]
	v_mov_b32_e32 v205, v83
	v_mov_b32_e32 v203, v61
	v_pk_add_f32 v[60:61], v[226:227], v[224:225]
	v_pk_add_f32 v[82:83], v[226:227], v[224:225] neg_lo:[0,1] neg_hi:[0,1]
	v_pk_add_f32 v[32:33], v[200:201], v[32:33]
	v_pk_add_f32 v[34:35], v[144:145], v[34:35]
	v_mov_b32_e32 v167, v37
	v_accvgpr_read_b32 v37, a23
	v_accvgpr_write_b32 a1, v65
	v_pk_mul_f32 v[64:65], v[98:99], s[26:27]
	v_mov_b32_e32 v61, v83
	v_pk_add_f32 v[78:79], v[232:233], v[78:79] neg_lo:[0,1] neg_hi:[0,1]
	v_pk_add_f32 v[32:33], v[202:203], v[32:33]
	v_pk_add_f32 v[34:35], v[152:153], v[34:35]
	v_accvgpr_read_b32 v36, a22
	v_mov_b32_e32 v209, v79
	v_pk_add_f32 v[64:65], v[234:235], v[64:65] neg_lo:[0,1] neg_hi:[0,1]
	v_pk_add_f32 v[32:33], v[60:61], v[32:33]
	v_pk_add_f32 v[34:35], v[158:159], v[34:35]
	v_pk_add_f32 v[36:37], v[176:177], v[36:37] neg_lo:[0,1] neg_hi:[0,1]
	v_mov_b32_e32 v213, v65
	v_pk_add_f32 v[32:33], v[208:209], v[32:33]
	v_pk_add_f32 v[34:35], v[166:167], v[34:35]
	v_mov_b32_e32 v175, v37
	v_pk_add_f32 v[32:33], v[212:213], v[32:33]
	v_pk_add_f32 v[34:35], v[174:175], v[34:35]
	ds_write2_b64 v59, v[32:33], v[34:35] offset0:2 offset1:3
	v_accvgpr_read_b32 v35, a19
	v_accvgpr_read_b32 v34, a18
	v_pk_add_f32 v[34:35], v[164:165], v[34:35] neg_lo:[0,1] neg_hi:[0,1]
	v_accvgpr_read_b32 v33, a21
	v_mov_b32_e32 v163, v35
	v_accvgpr_read_b32 v35, a17
	v_accvgpr_read_b32 v34, a16
	v_pk_add_f32 v[34:35], v[172:173], v[34:35] neg_lo:[0,1] neg_hi:[0,1]
	v_accvgpr_read_b32 v32, a20
	v_mov_b32_e32 v171, v35
	v_accvgpr_read_b32 v35, a15
	v_accvgpr_read_b32 v34, a14
	v_pk_add_f32 v[34:35], v[180:181], v[34:35] neg_lo:[0,1] neg_hi:[0,1]
	v_pk_add_f32 v[32:33], v[156:157], v[32:33] neg_lo:[0,1] neg_hi:[0,1]
	v_mov_b32_e32 v179, v35
	v_accvgpr_read_b32 v35, a13
	v_accvgpr_read_b32 v34, a12
	v_pk_add_f32 v[34:35], v[184:185], v[34:35] neg_lo:[0,1] neg_hi:[0,1]
	v_mov_b32_e32 v155, v33
	v_mov_b32_e32 v183, v35
	v_accvgpr_read_b32 v35, a11
	v_accvgpr_read_b32 v34, a10
	v_pk_add_f32 v[34:35], v[188:189], v[34:35] neg_lo:[0,1] neg_hi:[0,1]
	v_pk_add_f32 v[32:33], v[40:41], v[154:155]
	v_mov_b32_e32 v187, v35
	v_pk_add_f32 v[34:35], v[40:41], v[190:191]
	v_pk_add_f32 v[32:33], v[162:163], v[32:33]
	;; [unrolled: 1-line block ×11, first 2 shown]
	ds_write2_b64 v59, v[32:33], v[34:35] offset0:4 offset1:5
	v_pk_mul_f32 v[32:33], v[102:103], s[28:29]
	v_pk_mul_f32 v[34:35], v[104:105], s[14:15]
	v_pk_fma_f32 v[46:47], v[88:89], s[20:21], v[32:33]
	v_pk_fma_f32 v[48:49], v[88:89], s[20:21], v[32:33] neg_lo:[1,0,0] neg_hi:[1,0,0]
	v_pk_fma_f32 v[32:33], v[88:89], s[20:21], v[32:33] neg_lo:[0,0,1] neg_hi:[0,0,1]
	v_mov_b32_e32 v48, v46
	v_pk_fma_f32 v[50:51], v[90:91], s[26:27], v[34:35]
	v_pk_fma_f32 v[52:53], v[90:91], s[26:27], v[34:35] neg_lo:[1,0,0] neg_hi:[1,0,0]
	v_mov_b32_e32 v33, v47
	v_pk_fma_f32 v[34:35], v[90:91], s[26:27], v[34:35] neg_lo:[0,0,1] neg_hi:[0,0,1]
	v_pk_mul_f32 v[36:37], v[106:107], s[24:25]
	v_pk_add_f32 v[48:49], v[40:41], v[48:49]
	v_mov_b32_e32 v52, v50
	v_pk_add_f32 v[32:33], v[40:41], v[32:33]
	v_mov_b32_e32 v35, v51
	v_pk_add_f32 v[48:49], v[52:53], v[48:49]
	v_pk_fma_f32 v[52:53], v[92:93], s[18:19], v[36:37]
	v_pk_fma_f32 v[54:55], v[92:93], s[18:19], v[36:37] neg_lo:[1,0,0] neg_hi:[1,0,0]
	v_pk_add_f32 v[32:33], v[34:35], v[32:33]
	v_pk_fma_f32 v[34:35], v[92:93], s[18:19], v[36:37] neg_lo:[0,0,1] neg_hi:[0,0,1]
	v_pk_mul_f32 v[38:39], v[108:109], s[38:39]
	v_mov_b32_e32 v54, v52
	v_mov_b32_e32 v35, v53
	v_pk_add_f32 v[48:49], v[54:55], v[48:49]
	v_pk_fma_f32 v[54:55], v[94:95], s[30:31], v[38:39]
	v_pk_fma_f32 v[60:61], v[94:95], s[30:31], v[38:39] neg_lo:[1,0,0] neg_hi:[1,0,0]
	v_pk_add_f32 v[32:33], v[34:35], v[32:33]
	v_pk_fma_f32 v[34:35], v[94:95], s[30:31], v[38:39] neg_lo:[0,0,1] neg_hi:[0,0,1]
	v_pk_mul_f32 v[42:43], v[110:111], s[22:23]
	v_mov_b32_e32 v60, v54
	;; [unrolled: 8-line block ×3, first 2 shown]
	v_mov_b32_e32 v35, v61
	v_pk_add_f32 v[48:49], v[64:65], v[48:49]
	v_pk_fma_f32 v[64:65], v[98:99], s[34:35], v[44:45]
	v_pk_fma_f32 v[78:79], v[98:99], s[34:35], v[44:45] neg_lo:[1,0,0] neg_hi:[1,0,0]
	v_pk_add_f32 v[32:33], v[34:35], v[32:33]
	v_pk_fma_f32 v[34:35], v[98:99], s[34:35], v[44:45] neg_lo:[0,0,1] neg_hi:[0,0,1]
	v_mov_b32_e32 v78, v64
	v_mov_b32_e32 v35, v65
	v_accvgpr_read_b32 v245, a7
	v_pk_add_f32 v[48:49], v[78:79], v[48:49]
	v_pk_add_f32 v[32:33], v[34:35], v[32:33]
	v_accvgpr_read_b32 v244, a6
	v_accvgpr_read_b32 v115, a3
	;; [unrolled: 1-line block ×4, first 2 shown]
	ds_write2_b64 v59, v[48:49], v[32:33] offset0:6 offset1:7
	v_mov_b32_e32 v32, v84
	v_mov_b32_e32 v33, v86
	v_accvgpr_read_b32 v242, a0
	v_accvgpr_read_b32 v114, a2
	;; [unrolled: 1-line block ×5, first 2 shown]
	ds_write2_b64 v59, v[32:33], v[244:245] offset0:8 offset1:9
	v_mov_b32_e32 v32, v87
	v_mov_b32_e32 v33, v85
	ds_write2_b64 v59, v[60:61], v[32:33] offset0:10 offset1:11
	ds_write_b64 v59, v[56:57] offset:96
.LBB0_17:
	s_or_b64 exec, exec, s[46:47]
	v_add_u32_e32 v32, 0xa00, v58
	s_waitcnt lgkmcnt(0)
	s_barrier
	ds_read2_b64 v[32:35], v32 offset0:44 offset1:226
	v_add_u32_e32 v36, 0x2000, v58
	v_add_u32_e32 v44, 0x1600, v58
	ds_read2_b64 v[36:39], v36 offset0:68 offset1:250
	ds_read2_b64 v[40:43], v58 offset1:182
	ds_read2_b64 v[44:47], v44 offset0:24 offset1:206
	s_waitcnt lgkmcnt(3)
	v_mov_b32_e32 v48, v35
	v_pk_mul_f32 v[50:51], v[16:17], v[34:35] op_sel_hi:[1,0]
	v_pk_mul_f32 v[12:13], v[12:13], v[32:33]
	v_pk_fma_f32 v[48:49], v[16:17], v[48:49], v[50:51] op_sel:[0,0,1] op_sel_hi:[1,1,0] neg_lo:[0,0,1] neg_hi:[0,0,1]
	v_pk_fma_f32 v[16:17], v[16:17], v[34:35], v[50:51] op_sel:[0,1,1] op_sel_hi:[1,1,0]
	s_waitcnt lgkmcnt(2)
	v_pk_mul_f32 v[34:35], v[114:115], v[38:39] op_sel_hi:[1,0]
	v_mov_b32_e32 v49, v17
	s_waitcnt lgkmcnt(0)
	v_pk_mul_f32 v[16:17], v[18:19], v[46:47]
	s_nop 0
	v_pk_fma_f32 v[18:19], v[148:149], v[46:47], v[16:17] op_sel:[0,0,1] op_sel_hi:[1,1,0]
	v_pk_fma_f32 v[16:17], v[148:149], v[46:47], v[16:17] op_sel:[0,0,1] op_sel_hi:[1,1,0] neg_lo:[0,0,1] neg_hi:[0,0,1]
	s_barrier
	v_mov_b32_e32 v16, v39
	v_mov_b32_e32 v19, v17
	v_pk_fma_f32 v[16:17], v[114:115], v[16:17], v[34:35] op_sel:[0,0,1] op_sel_hi:[1,1,0] neg_lo:[0,0,1] neg_hi:[0,0,1]
	v_pk_fma_f32 v[34:35], v[114:115], v[38:39], v[34:35] op_sel:[0,1,1] op_sel_hi:[1,1,0]
	v_pk_add_f32 v[18:19], v[42:43], v[18:19] neg_lo:[0,1] neg_hi:[0,1]
	v_mov_b32_e32 v17, v35
	v_pk_add_f32 v[34:35], v[48:49], v[16:17] neg_lo:[0,1] neg_hi:[0,1]
	s_nop 0
	v_pk_add_f32 v[16:17], v[18:19], v[34:35]
	v_pk_add_f32 v[38:39], v[18:19], v[34:35] neg_lo:[0,1] neg_hi:[0,1]
                                        ; implicit-def: $vgpr46_vgpr47
	s_nop 0
	v_mov_b32_e32 v17, v39
	v_pk_fma_f32 v[38:39], v[138:139], v[32:33], v[12:13] op_sel:[0,0,1] op_sel_hi:[1,1,0]
	v_pk_fma_f32 v[12:13], v[138:139], v[32:33], v[12:13] op_sel:[0,0,1] op_sel_hi:[1,1,0] neg_lo:[0,0,1] neg_hi:[0,0,1]
	s_nop 0
	v_mov_b32_e32 v39, v13
	v_pk_mul_f32 v[12:13], v[14:15], v[44:45]
	s_nop 0
	v_pk_fma_f32 v[14:15], v[136:137], v[44:45], v[12:13] op_sel:[0,0,1] op_sel_hi:[1,1,0]
	v_pk_fma_f32 v[12:13], v[136:137], v[44:45], v[12:13] op_sel:[0,0,1] op_sel_hi:[1,1,0] neg_lo:[0,0,1] neg_hi:[0,0,1]
	s_nop 0
	v_mov_b32_e32 v15, v13
	v_pk_mul_f32 v[12:13], v[62:63], v[36:37]
	s_nop 0
	v_pk_fma_f32 v[32:33], v[134:135], v[36:37], v[12:13] op_sel:[0,0,1] op_sel_hi:[1,1,0]
	v_pk_fma_f32 v[12:13], v[134:135], v[36:37], v[12:13] op_sel:[0,0,1] op_sel_hi:[1,1,0] neg_lo:[0,0,1] neg_hi:[0,0,1]
	s_nop 0
	v_mov_b32_e32 v33, v13
	v_pk_add_f32 v[12:13], v[40:41], v[14:15] neg_lo:[0,1] neg_hi:[0,1]
	v_pk_add_f32 v[32:33], v[38:39], v[32:33] neg_lo:[0,1] neg_hi:[0,1]
	v_pk_fma_f32 v[14:15], v[40:41], 2.0, v[12:13] op_sel_hi:[1,0,1] neg_lo:[0,0,1] neg_hi:[0,0,1]
	v_pk_fma_f32 v[36:37], v[38:39], 2.0, v[32:33] op_sel_hi:[1,0,1] neg_lo:[0,0,1] neg_hi:[0,0,1]
	v_pk_add_f32 v[38:39], v[12:13], v[32:33] op_sel:[0,1] op_sel_hi:[1,0]
	v_pk_add_f32 v[32:33], v[12:13], v[32:33] op_sel:[0,1] op_sel_hi:[1,0] neg_lo:[0,1] neg_hi:[0,1]
	v_pk_add_f32 v[36:37], v[14:15], v[36:37] neg_lo:[0,1] neg_hi:[0,1]
	v_mov_b32_e32 v39, v33
	v_pk_fma_f32 v[14:15], v[14:15], 2.0, v[36:37] op_sel_hi:[1,0,1] neg_lo:[0,0,1] neg_hi:[0,0,1]
	v_pk_fma_f32 v[12:13], v[12:13], 2.0, v[38:39] op_sel_hi:[1,0,1] neg_lo:[0,0,1] neg_hi:[0,0,1]
	ds_write2_b64 v101, v[14:15], v[12:13] offset1:13
	ds_write2_b64 v101, v[36:37], v[38:39] offset0:26 offset1:39
	v_pk_fma_f32 v[12:13], v[18:19], 2.0, v[16:17] op_sel_hi:[1,0,1] neg_lo:[0,0,1] neg_hi:[0,0,1]
	v_pk_fma_f32 v[14:15], v[42:43], 2.0, v[18:19] op_sel_hi:[1,0,1] neg_lo:[0,0,1] neg_hi:[0,0,1]
	v_pk_fma_f32 v[18:19], v[48:49], 2.0, v[34:35] op_sel_hi:[1,0,1] neg_lo:[0,0,1] neg_hi:[0,0,1]
                                        ; implicit-def: $vgpr48_vgpr49
	s_nop 0
	v_pk_add_f32 v[18:19], v[14:15], v[18:19] op_sel:[0,1] op_sel_hi:[1,0] neg_lo:[0,1] neg_hi:[0,1]
	s_nop 0
	v_pk_fma_f32 v[14:15], v[14:15], 2.0, v[18:19] op_sel_hi:[1,0,1] neg_lo:[0,0,1] neg_hi:[0,0,1]
	ds_write2_b64 v65, v[14:15], v[12:13] offset1:13
	ds_write2_b64 v65, v[18:19], v[16:17] offset0:26 offset1:39
	v_add_u32_e32 v18, 0xc00, v58
	s_waitcnt lgkmcnt(0)
	s_barrier
	ds_read2_b64 v[36:39], v18 offset0:32 offset1:240
	v_add_u32_e32 v18, 0x1a00, v58
	ds_read2_b64 v[12:15], v58 offset1:208
	ds_read2_b64 v[32:35], v18 offset1:208
	ds_read_b64 v[50:51], v58 offset:9984
	s_and_saveexec_b64 s[0:1], s[4:5]
	s_xor_b64 s[0:1], exec, s[0:1]
; %bb.18:
	v_mov_b32_e32 v46, v78
	v_mov_b32_e32 v47, v61
	;; [unrolled: 1-line block ×4, first 2 shown]
; %bb.19:
	s_andn2_saveexec_b64 s[0:1], s[0:1]
	s_cbranch_execz .LBB0_21
; %bb.20:
	v_add_u32_e32 v16, 0x500, v58
	v_add_u32_e32 v17, 0x1200, v58
	;; [unrolled: 1-line block ×3, first 2 shown]
	ds_read_b64 v[44:45], v58 offset:11440
	ds_read2_b64 v[40:43], v17 offset0:22 offset1:230
	ds_read2_b64 v[16:19], v16 offset0:22 offset1:230
	;; [unrolled: 1-line block ×3, first 2 shown]
	s_waitcnt lgkmcnt(3)
	v_mov_b32_e32 v46, v44
	s_waitcnt lgkmcnt(2)
	v_mov_b32_e32 v47, v43
	v_mov_b32_e32 v48, v45
	;; [unrolled: 1-line block ×3, first 2 shown]
	s_waitcnt lgkmcnt(1)
	v_mov_b32_e32 v84, v18
	s_waitcnt lgkmcnt(0)
	v_mov_b32_e32 v85, v55
	v_mov_b32_e32 v86, v19
	;; [unrolled: 1-line block ×3, first 2 shown]
	v_mov_b64_e32 v[244:245], v[40:41]
.LBB0_21:
	s_or_b64 exec, exec, s[0:1]
	s_waitcnt lgkmcnt(3)
	v_pk_mul_f32 v[80:81], v[24:25], v[38:39] op_sel:[0,1] op_sel_hi:[1,0]
	s_waitcnt lgkmcnt(2)
	v_pk_mul_f32 v[52:53], v[20:21], v[14:15] op_sel_hi:[1,0]
	v_mov_b32_e32 v54, v15
	v_mov_b32_e32 v80, v81
	s_waitcnt lgkmcnt(1)
	v_pk_mul_f32 v[82:83], v[26:27], v[32:33] op_sel:[0,1] op_sel_hi:[1,0]
	v_pk_mul_f32 v[60:61], v[22:23], v[36:37] op_sel_hi:[1,0]
	v_mov_b32_e32 v62, v37
	v_pk_mul_f32 v[64:65], v[24:25], v[38:39]
	v_mov_b32_e32 v78, v25
	v_pk_fma_f32 v[24:25], v[24:25], v[38:39], v[80:81] op_sel:[0,1,0] op_sel_hi:[1,0,1] neg_lo:[0,0,1] neg_hi:[0,0,1]
	v_mov_b32_e32 v80, v27
	v_mov_b32_e32 v82, v83
	v_pk_fma_f32 v[54:55], v[20:21], v[54:55], v[52:53] op_sel:[0,0,1] op_sel_hi:[1,1,0] neg_lo:[0,0,1] neg_hi:[0,0,1]
	v_pk_fma_f32 v[14:15], v[20:21], v[14:15], v[52:53] op_sel:[0,1,1] op_sel_hi:[1,1,0]
	v_pk_mul_f32 v[78:79], v[78:79], v[38:39] op_sel:[0,1] op_sel_hi:[1,0]
	v_pk_mul_f32 v[38:39], v[26:27], v[32:33]
	v_pk_mul_f32 v[80:81], v[80:81], v[32:33] op_sel:[0,1] op_sel_hi:[1,0]
	v_pk_fma_f32 v[26:27], v[26:27], v[32:33], v[82:83] op_sel:[0,1,0] op_sel_hi:[1,0,1] neg_lo:[0,0,1] neg_hi:[0,0,1]
	v_pk_mul_f32 v[32:33], v[28:29], v[34:35] op_sel_hi:[1,0]
	v_mov_b32_e32 v82, v35
	v_mov_b32_e32 v55, v15
	v_pk_fma_f32 v[14:15], v[22:23], v[62:63], v[60:61] op_sel:[0,0,1] op_sel_hi:[1,1,0] neg_lo:[0,0,1] neg_hi:[0,0,1]
	v_pk_fma_f32 v[20:21], v[22:23], v[36:37], v[60:61] op_sel:[0,1,1] op_sel_hi:[1,1,0]
	s_waitcnt lgkmcnt(0)
	v_pk_mul_f32 v[88:89], v[30:31], v[50:51] op_sel_hi:[1,0]
	v_mov_b32_e32 v90, v51
	v_mov_b32_e32 v15, v21
	v_pk_fma_f32 v[20:21], v[28:29], v[82:83], v[32:33] op_sel:[0,0,1] op_sel_hi:[1,1,0] neg_lo:[0,0,1] neg_hi:[0,0,1]
	v_pk_fma_f32 v[22:23], v[28:29], v[34:35], v[32:33] op_sel:[0,1,1] op_sel_hi:[1,1,0]
	v_pk_fma_f32 v[28:29], v[30:31], v[50:51], v[88:89] op_sel:[0,1,1] op_sel_hi:[1,1,0]
	v_mov_b32_e32 v21, v23
	v_pk_fma_f32 v[22:23], v[30:31], v[90:91], v[88:89] op_sel:[0,0,1] op_sel_hi:[1,1,0] neg_lo:[0,0,1] neg_hi:[0,0,1]
	v_mov_b32_e32 v39, v54
	v_mov_b32_e32 v23, v29
	;; [unrolled: 1-line block ×5, first 2 shown]
	v_pk_add_f32 v[28:29], v[54:55], v[22:23]
	v_pk_add_f32 v[30:31], v[54:55], v[22:23] neg_lo:[0,1] neg_hi:[0,1]
	v_pk_add_f32 v[32:33], v[14:15], v[20:21]
	v_pk_add_f32 v[34:35], v[14:15], v[20:21] neg_lo:[0,1] neg_hi:[0,1]
	v_pk_add_f32 v[22:23], v[38:39], v[80:81]
	v_pk_add_f32 v[14:15], v[64:65], v[78:79]
	v_mov_b32_e32 v27, v22
	v_mov_b32_e32 v25, v14
	v_pk_add_f32 v[20:21], v[26:27], v[24:25] neg_lo:[0,1] neg_hi:[0,1]
	v_mov_b32_e32 v52, v33
	v_mov_b32_e32 v53, v24
	;; [unrolled: 1-line block ×4, first 2 shown]
	v_pk_add_f32 v[24:25], v[52:53], v[24:25]
	v_pk_add_f32 v[26:27], v[14:15], v[22:23]
	v_mov_b32_e32 v36, v20
	v_mov_b32_e32 v37, v31
	;; [unrolled: 1-line block ×4, first 2 shown]
	s_mov_b32 s4, 0x3f08b237
	v_mov_b32_e32 v22, v26
	v_mov_b32_e32 v53, v25
	s_mov_b32 s26, 0x3d64c772
	v_pk_add_f32 v[36:37], v[36:37], v[38:39] neg_lo:[0,1] neg_hi:[0,1]
	s_mov_b32 s5, 0xbeae86e6
	v_mov_b32_e32 v38, v30
	v_mov_b32_e32 v50, v20
	;; [unrolled: 1-line block ×3, first 2 shown]
	v_pk_add_f32 v[52:53], v[22:23], v[52:53] neg_lo:[0,1] neg_hi:[0,1]
	v_mov_b32_e32 v54, v29
	v_mov_b32_e32 v55, v25
	;; [unrolled: 1-line block ×3, first 2 shown]
	v_pk_add_f32 v[24:25], v[24:25], v[26:27]
	s_mov_b32 s27, 0x3f4a47b2
	v_pk_mul_f32 v[36:37], v[36:37], s[4:5]
	v_pk_add_f32 v[38:39], v[38:39], v[50:51] neg_lo:[0,1] neg_hi:[0,1]
	s_mov_b32 s14, s5
	s_mov_b32 s15, s4
	v_pk_add_f32 v[20:21], v[20:21], v[34:35]
	v_pk_add_f32 v[54:55], v[54:55], v[14:15] neg_lo:[0,1] neg_hi:[0,1]
	v_pk_add_f32 v[12:13], v[12:13], v[24:25]
	s_mov_b32 s24, 0xbf955555
	v_pk_mul_f32 v[26:27], v[52:53], s[26:27]
	s_mov_b32 s28, s27
	s_mov_b32 s29, s26
	v_pk_mul_f32 v[50:51], v[38:39], s[14:15]
	v_pk_add_f32 v[20:21], v[20:21], v[30:31]
	s_mov_b32 s0, 0xbee1c552
	v_pk_mul_f32 v[52:53], v[54:55], s[28:29]
	v_pk_fma_f32 v[24:25], v[24:25], s[24:25], v[12:13] op_sel_hi:[1,0,1]
	v_pk_fma_f32 v[54:55], v[54:55], s[28:29], v[26:27]
	v_pk_fma_f32 v[38:39], v[38:39], s[14:15], v[36:37]
	v_pk_add_f32 v[54:55], v[54:55], v[24:25]
	v_pk_fma_f32 v[38:39], v[20:21], s[0:1], v[38:39] op_sel_hi:[1,0,1]
	v_mov_b32_e32 v14, v33
	v_pk_add_f32 v[60:61], v[54:55], v[38:39]
	v_pk_add_f32 v[38:39], v[54:55], v[38:39] neg_lo:[0,1] neg_hi:[0,1]
	v_mov_b32_e32 v54, v60
	v_mov_b32_e32 v55, v39
	;; [unrolled: 1-line block ×3, first 2 shown]
	s_barrier
	ds_write2_b64 v119, v[12:13], v[54:55] offset1:52
	v_pk_add_f32 v[12:13], v[34:35], v[30:31] neg_lo:[0,1] neg_hi:[0,1]
	s_mov_b32 s18, 0xbf5ff5aa
	v_pk_add_f32 v[14:15], v[14:15], v[22:23] neg_lo:[0,1] neg_hi:[0,1]
	s_mov_b32 s20, 0x3f3bfb3b
	v_mov_b32_e32 v22, v52
	v_mov_b32_e32 v23, v27
	;; [unrolled: 1-line block ×6, first 2 shown]
	v_pk_fma_f32 v[22:23], v[14:15], s[20:21], v[22:23] op_sel_hi:[1,0,1] neg_lo:[1,0,1] neg_hi:[1,0,1]
	v_pk_fma_f32 v[28:29], v[12:13], s[18:19], v[28:29] op_sel_hi:[1,0,1] neg_lo:[1,0,1] neg_hi:[1,0,1]
	;; [unrolled: 1-line block ×4, first 2 shown]
	v_pk_add_f32 v[22:23], v[22:23], v[24:25]
	v_pk_fma_f32 v[28:29], v[20:21], s[0:1], v[28:29] op_sel_hi:[1,0,1]
	v_pk_add_f32 v[14:15], v[14:15], v[24:25]
	v_pk_fma_f32 v[12:13], v[20:21], s[0:1], v[12:13] op_sel_hi:[1,0,1]
	v_pk_add_f32 v[30:31], v[22:23], v[28:29]
	v_pk_add_f32 v[22:23], v[22:23], v[28:29] neg_lo:[0,1] neg_hi:[0,1]
	v_pk_add_f32 v[20:21], v[14:15], v[12:13] neg_lo:[0,1] neg_hi:[0,1]
	v_pk_add_f32 v[12:13], v[14:15], v[12:13]
	v_mov_b32_e32 v28, v30
	v_mov_b32_e32 v29, v23
	;; [unrolled: 1-line block ×16, first 2 shown]
	ds_write2_b64 v119, v[28:29], v[14:15] offset0:104 offset1:156
	v_mov_b32_e32 v13, v21
	v_mov_b32_e32 v23, v31
	v_add_u32_e32 v14, 0x400, v119
	v_mov_b32_e32 v39, v61
	ds_write2_b64 v14, v[12:13], v[22:23] offset0:80 offset1:132
	ds_write_b64 v119, v[38:39] offset:2496
	s_and_saveexec_b64 s[22:23], s[2:3]
	s_cbranch_execz .LBB0_23
; %bb.22:
	v_mov_b32_e32 v34, v3
	v_mov_b32_e32 v35, v7
	;; [unrolled: 1-line block ×6, first 2 shown]
	v_pk_mul_f32 v[34:35], v[34:35], v[36:37]
	v_mov_b32_e32 v37, v8
	v_mov_b32_e32 v52, v1
	;; [unrolled: 1-line block ×5, first 2 shown]
	v_pk_mul_f32 v[6:7], v[6:7], v[244:245]
	v_pk_mul_f32 v[8:9], v[8:9], v[56:57]
	v_mov_b32_e32 v14, v5
	v_mov_b32_e32 v20, v5
	v_mov_b32_e32 v21, v3
	v_mov_b32_e32 v26, v11
	v_mov_b32_e32 v27, v1
	v_pk_mul_f32 v[52:53], v[52:53], v[54:55]
	v_mov_b32_e32 v54, v8
	v_mov_b32_e32 v55, v6
	;; [unrolled: 1-line block ×3, first 2 shown]
	v_pk_mul_f32 v[8:9], v[24:25], v[46:47]
	v_mov_b32_e32 v12, v4
	v_mov_b32_e32 v13, v2
	v_pk_mul_f32 v[20:21], v[20:21], v[86:87]
	v_mov_b32_e32 v22, v10
	v_mov_b32_e32 v23, v0
	;; [unrolled: 3-line block ×3, first 2 shown]
	v_mov_b32_e32 v32, v87
	v_mov_b32_e32 v33, v245
	;; [unrolled: 1-line block ×6, first 2 shown]
	v_pk_fma_f32 v[8:9], v[10:11], v[48:49], v[8:9] neg_lo:[0,0,1] neg_hi:[0,0,1]
	v_pk_mul_f32 v[10:11], v[14:15], v[84:85]
	v_pk_add_f32 v[6:7], v[54:55], v[6:7]
	v_pk_fma_f32 v[4:5], v[4:5], v[86:87], v[10:11] neg_lo:[0,0,1] neg_hi:[0,0,1]
	v_pk_fma_f32 v[24:25], v[22:23], v[46:47], v[26:27]
	v_pk_fma_f32 v[22:23], v[22:23], v[46:47], v[26:27] neg_lo:[0,0,1] neg_hi:[0,0,1]
	v_pk_fma_f32 v[26:27], v[12:13], v[84:85], v[20:21]
	;; [unrolled: 2-line block ×4, first 2 shown]
	v_pk_fma_f32 v[28:29], v[28:29], v[32:33], v[34:35] neg_lo:[0,0,1] neg_hi:[0,0,1]
	v_pk_add_f32 v[10:11], v[8:9], v[4:5]
	v_mov_b32_e32 v14, v7
	v_mov_b32_e32 v25, v23
	;; [unrolled: 1-line block ×7, first 2 shown]
	v_pk_add_f32 v[14:15], v[6:7], v[14:15]
	v_pk_add_f32 v[30:31], v[24:25], v[26:27]
	;; [unrolled: 1-line block ×3, first 2 shown]
	v_pk_add_f32 v[4:5], v[4:5], v[8:9] neg_lo:[0,1] neg_hi:[0,1]
	v_mov_b32_e32 v8, v13
	v_mov_b32_e32 v9, v2
	;; [unrolled: 1-line block ×7, first 2 shown]
	v_pk_add_f32 v[0:1], v[8:9], v[2:3] neg_lo:[0,1] neg_hi:[0,1]
	v_mov_b32_e32 v2, v29
	v_mov_b32_e32 v3, v7
	v_mov_b32_e32 v8, v21
	v_mov_b32_e32 v9, v6
	v_pk_add_f32 v[38:39], v[38:39], v[14:15] neg_lo:[0,1] neg_hi:[0,1]
	v_mov_b32_e32 v15, v33
	v_mov_b32_e32 v46, v30
	;; [unrolled: 1-line block ×3, first 2 shown]
	v_pk_add_f32 v[2:3], v[2:3], v[8:9] neg_lo:[0,1] neg_hi:[0,1]
	v_pk_add_f32 v[34:35], v[30:31], v[32:33] neg_lo:[0,1] neg_hi:[0,1]
	v_pk_add_f32 v[10:11], v[14:15], v[46:47]
	v_mov_b32_e32 v33, v31
	v_mov_b32_e32 v12, v0
	v_mov_b32_e32 v13, v5
	v_mov_b32_e32 v20, v2
	v_mov_b32_e32 v21, v1
	v_pk_add_f32 v[10:11], v[32:33], v[10:11]
	v_mov_b32_e32 v6, v4
	v_mov_b32_e32 v7, v1
	;; [unrolled: 1-line block ×4, first 2 shown]
	v_pk_add_f32 v[12:13], v[12:13], v[20:21] neg_lo:[0,1] neg_hi:[0,1]
	v_pk_mul_f32 v[38:39], v[38:39], s[26:27]
	v_pk_add_f32 v[16:17], v[16:17], v[10:11]
	v_pk_add_f32 v[6:7], v[6:7], v[8:9] neg_lo:[0,1] neg_hi:[0,1]
	v_pk_mul_f32 v[12:13], v[12:13], s[4:5]
	v_pk_add_f32 v[0:1], v[0:1], v[2:3]
	v_pk_mul_f32 v[36:37], v[34:35], s[28:29]
	v_pk_fma_f32 v[34:35], v[34:35], s[28:29], v[38:39]
	v_pk_fma_f32 v[10:11], v[10:11], s[24:25], v[16:17] op_sel_hi:[1,0,1]
	v_pk_mul_f32 v[8:9], v[6:7], s[14:15]
	v_pk_fma_f32 v[6:7], v[6:7], s[14:15], v[12:13]
	v_pk_add_f32 v[0:1], v[0:1], v[4:5]
	v_pk_add_f32 v[30:31], v[34:35], v[10:11]
	v_pk_fma_f32 v[6:7], v[0:1], s[0:1], v[6:7] op_sel_hi:[1,0,1]
	v_pk_add_f32 v[2:3], v[2:3], v[4:5] neg_lo:[0,1] neg_hi:[0,1]
	v_pk_add_f32 v[20:21], v[30:31], v[6:7] neg_lo:[0,1] neg_hi:[0,1]
	v_pk_add_f32 v[6:7], v[30:31], v[6:7]
	v_mov_b32_e32 v23, v21
	v_mov_b32_e32 v22, v6
	v_add_u32_e32 v6, 0x2000, v118
	v_mov_b32_e32 v4, v8
	v_mov_b32_e32 v5, v13
	;; [unrolled: 1-line block ×3, first 2 shown]
	ds_write2_b64 v6, v[16:17], v[22:23] offset0:68 offset1:120
	v_mov_b32_e32 v16, v36
	v_mov_b32_e32 v17, v39
	v_pk_add_f32 v[14:15], v[14:15], v[46:47] neg_lo:[0,1] neg_hi:[0,1]
	v_pk_fma_f32 v[4:5], v[2:3], s[18:19], v[4:5] op_sel_hi:[1,0,1] neg_lo:[1,0,1] neg_hi:[1,0,1]
	v_pk_fma_f32 v[2:3], v[2:3], s[18:19], v[12:13] op_sel_hi:[1,0,1] neg_lo:[0,0,1] neg_hi:[0,0,1]
	v_mov_b32_e32 v39, v37
	v_pk_fma_f32 v[16:17], v[14:15], s[20:21], v[16:17] op_sel_hi:[1,0,1] neg_lo:[1,0,1] neg_hi:[1,0,1]
	v_pk_fma_f32 v[4:5], v[0:1], s[0:1], v[4:5] op_sel_hi:[1,0,1]
	v_pk_fma_f32 v[0:1], v[0:1], s[0:1], v[2:3] op_sel_hi:[1,0,1]
	v_pk_fma_f32 v[2:3], v[14:15], s[20:21], v[38:39] op_sel_hi:[1,0,1] neg_lo:[0,0,1] neg_hi:[0,0,1]
	v_pk_add_f32 v[16:17], v[16:17], v[10:11]
	v_pk_add_f32 v[2:3], v[2:3], v[10:11]
	v_pk_add_f32 v[22:23], v[16:17], v[4:5] neg_lo:[0,1] neg_hi:[0,1]
	v_pk_add_f32 v[4:5], v[16:17], v[4:5]
	v_pk_add_f32 v[8:9], v[2:3], v[0:1]
	v_pk_add_f32 v[0:1], v[2:3], v[0:1] neg_lo:[0,1] neg_hi:[0,1]
	v_mov_b32_e32 v16, v4
	v_mov_b32_e32 v17, v23
	;; [unrolled: 1-line block ×6, first 2 shown]
	v_add_u32_e32 v0, 0x2800, v118
	v_mov_b32_e32 v21, v7
	ds_write2_b64 v6, v[16:17], v[2:3] offset0:172 offset1:224
	ds_write2_b64 v0, v[8:9], v[22:23] offset0:20 offset1:72
	ds_write_b64 v118, v[20:21] offset:11232
.LBB0_23:
	s_or_b64 exec, exec, s[22:23]
	v_add_u32_e32 v22, 0x1600, v58
	s_waitcnt lgkmcnt(0)
	s_barrier
	ds_read2_b64 v[0:3], v22 offset0:24 offset1:206
	ds_read2_b64 v[4:7], v58 offset1:182
	v_add_u32_e32 v23, 0x2000, v58
	v_add_u32_e32 v24, 0xa00, v58
	s_movk_i32 s2, 0x2000
	s_waitcnt lgkmcnt(1)
	v_pk_mul_f32 v[8:9], v[66:67], v[0:1]
	s_nop 0
	v_pk_fma_f32 v[10:11], v[42:43], v[0:1], v[8:9] op_sel:[0,0,1] op_sel_hi:[1,1,0]
	v_pk_fma_f32 v[0:1], v[42:43], v[0:1], v[8:9] op_sel:[0,0,1] op_sel_hi:[1,1,0] neg_lo:[0,0,1] neg_hi:[0,0,1]
	s_nop 0
	v_mov_b32_e32 v11, v1
	s_waitcnt lgkmcnt(0)
	v_pk_add_f32 v[8:9], v[4:5], v[10:11] neg_lo:[0,1] neg_hi:[0,1]
	v_pk_mul_f32 v[0:1], v[68:69], v[2:3]
	v_pk_fma_f32 v[10:11], v[4:5], 2.0, v[8:9] op_sel_hi:[1,0,1] neg_lo:[0,0,1] neg_hi:[0,0,1]
	v_pk_fma_f32 v[4:5], v[44:45], v[2:3], v[0:1] op_sel:[0,0,1] op_sel_hi:[1,1,0]
	v_pk_fma_f32 v[0:1], v[44:45], v[2:3], v[0:1] op_sel:[0,0,1] op_sel_hi:[1,1,0] neg_lo:[0,0,1] neg_hi:[0,0,1]
	s_nop 0
	v_mov_b32_e32 v5, v1
	ds_read2_b64 v[0:3], v23 offset0:68 offset1:250
	v_pk_add_f32 v[12:13], v[6:7], v[4:5] neg_lo:[0,1] neg_hi:[0,1]
	s_waitcnt lgkmcnt(0)
	v_pk_mul_f32 v[16:17], v[68:69], v[2:3]
	v_pk_fma_f32 v[14:15], v[6:7], 2.0, v[12:13] op_sel_hi:[1,0,1] neg_lo:[0,0,1] neg_hi:[0,0,1]
	ds_read2_b64 v[4:7], v24 offset0:44 offset1:226
	v_pk_fma_f32 v[20:21], v[44:45], v[2:3], v[16:17] op_sel:[0,0,1] op_sel_hi:[1,1,0]
	v_pk_fma_f32 v[2:3], v[44:45], v[2:3], v[16:17] op_sel:[0,0,1] op_sel_hi:[1,1,0] neg_lo:[0,0,1] neg_hi:[0,0,1]
	v_pk_mul_f32 v[16:17], v[66:67], v[0:1]
	v_mov_b32_e32 v21, v3
	s_waitcnt lgkmcnt(0)
	v_pk_add_f32 v[2:3], v[6:7], v[20:21] neg_lo:[0,1] neg_hi:[0,1]
	v_pk_fma_f32 v[20:21], v[42:43], v[0:1], v[16:17] op_sel:[0,0,1] op_sel_hi:[1,1,0]
	v_pk_fma_f32 v[0:1], v[42:43], v[0:1], v[16:17] op_sel:[0,0,1] op_sel_hi:[1,1,0] neg_lo:[0,0,1] neg_hi:[0,0,1]
	v_pk_fma_f32 v[6:7], v[6:7], 2.0, v[2:3] op_sel_hi:[1,0,1] neg_lo:[0,0,1] neg_hi:[0,0,1]
	v_mov_b32_e32 v21, v1
	v_pk_add_f32 v[0:1], v[4:5], v[20:21] neg_lo:[0,1] neg_hi:[0,1]
	s_nop 0
	v_pk_fma_f32 v[4:5], v[4:5], 2.0, v[0:1] op_sel_hi:[1,0,1] neg_lo:[0,0,1] neg_hi:[0,0,1]
	s_barrier
	ds_write2_b64 v58, v[10:11], v[14:15] offset1:182
	ds_write2_b64 v24, v[8:9], v[12:13] offset0:44 offset1:226
	ds_write2_b64 v22, v[4:5], v[6:7] offset0:24 offset1:206
	;; [unrolled: 1-line block ×3, first 2 shown]
	s_waitcnt lgkmcnt(0)
	s_barrier
	ds_read2_b64 v[0:3], v22 offset0:24 offset1:206
	ds_read2_b64 v[4:7], v58 offset1:182
	s_waitcnt lgkmcnt(1)
	v_pk_mul_f32 v[8:9], v[74:75], v[0:1] op_sel:[1,0]
	s_nop 0
	v_pk_fma_f32 v[10:11], v[74:75], v[0:1], v[8:9] op_sel:[0,0,1] op_sel_hi:[1,1,0]
	v_pk_fma_f32 v[0:1], v[74:75], v[0:1], v[8:9] op_sel:[0,0,1] op_sel_hi:[0,1,0] neg_lo:[0,0,1] neg_hi:[0,0,1]
	v_mov_b32_e32 v11, v1
	s_waitcnt lgkmcnt(0)
	v_pk_add_f32 v[8:9], v[4:5], v[10:11] neg_lo:[0,1] neg_hi:[0,1]
	v_pk_mul_f32 v[0:1], v[76:77], v[2:3]
	v_pk_fma_f32 v[10:11], v[4:5], 2.0, v[8:9] op_sel_hi:[1,0,1] neg_lo:[0,0,1] neg_hi:[0,0,1]
	v_pk_fma_f32 v[4:5], v[40:41], v[2:3], v[0:1] op_sel:[0,0,1] op_sel_hi:[1,1,0]
	v_pk_fma_f32 v[12:13], v[40:41], v[2:3], v[0:1] op_sel:[0,0,1] op_sel_hi:[1,1,0] neg_lo:[0,0,1] neg_hi:[0,0,1]
	ds_read2_b64 v[0:3], v23 offset0:68 offset1:250
	v_mov_b32_e32 v5, v13
	v_pk_add_f32 v[12:13], v[6:7], v[4:5] neg_lo:[0,1] neg_hi:[0,1]
	s_waitcnt lgkmcnt(0)
	v_pk_mul_f32 v[16:17], v[70:71], v[0:1] op_sel:[1,0]
	v_pk_fma_f32 v[14:15], v[6:7], 2.0, v[12:13] op_sel_hi:[1,0,1] neg_lo:[0,0,1] neg_hi:[0,0,1]
	ds_read2_b64 v[4:7], v24 offset0:44 offset1:226
	ds_write2_b64 v58, v[10:11], v[14:15] offset1:182
	v_pk_mul_f32 v[10:11], v[72:73], v[2:3]
	v_pk_fma_f32 v[20:21], v[70:71], v[0:1], v[16:17] op_sel:[0,0,1] op_sel_hi:[1,1,0]
	v_pk_fma_f32 v[0:1], v[70:71], v[0:1], v[16:17] op_sel:[0,0,1] op_sel_hi:[0,1,0] neg_lo:[0,0,1] neg_hi:[0,0,1]
	v_pk_fma_f32 v[14:15], v[18:19], v[2:3], v[10:11] op_sel:[0,0,1] op_sel_hi:[1,1,0]
	v_pk_fma_f32 v[2:3], v[18:19], v[2:3], v[10:11] op_sel:[0,0,1] op_sel_hi:[1,1,0] neg_lo:[0,0,1] neg_hi:[0,0,1]
	v_mov_b32_e32 v21, v1
	v_mov_b32_e32 v15, v3
	s_waitcnt lgkmcnt(1)
	v_pk_add_f32 v[0:1], v[4:5], v[20:21] neg_lo:[0,1] neg_hi:[0,1]
	v_pk_add_f32 v[2:3], v[6:7], v[14:15] neg_lo:[0,1] neg_hi:[0,1]
	v_pk_fma_f32 v[4:5], v[4:5], 2.0, v[0:1] op_sel_hi:[1,0,1] neg_lo:[0,0,1] neg_hi:[0,0,1]
	v_pk_fma_f32 v[6:7], v[6:7], 2.0, v[2:3] op_sel_hi:[1,0,1] neg_lo:[0,0,1] neg_hi:[0,0,1]
	ds_write2_b64 v22, v[8:9], v[12:13] offset0:24 offset1:206
	ds_write2_b64 v24, v[4:5], v[6:7] offset0:44 offset1:226
	;; [unrolled: 1-line block ×3, first 2 shown]
	s_waitcnt lgkmcnt(0)
	s_barrier
	s_and_b64 exec, exec, s[6:7]
	s_cbranch_execz .LBB0_25
; %bb.24:
	global_load_dwordx2 v[8:9], v58, s[12:13]
	global_load_dwordx2 v[10:11], v58, s[12:13] offset:896
	global_load_dwordx2 v[12:13], v58, s[12:13] offset:1792
	;; [unrolled: 1-line block ×3, first 2 shown]
	ds_read_b64 v[16:17], v58
	global_load_dwordx2 v[24:25], v58, s[12:13] offset:3584
	v_mov_b32_e32 v59, 0
	s_movk_i32 s6, 0x1000
	v_lshl_add_u64 v[28:29], s[12:13], 0, v[58:59]
	v_add_co_u32_e32 v32, vcc, s6, v28
	v_mad_u64_u32 v[22:23], s[4:5], s8, v243, 0
	s_nop 0
	v_addc_co_u32_e32 v33, vcc, 0, v29, vcc
	global_load_dwordx2 v[34:35], v[32:33], off offset:384
	v_mov_b32_e32 v30, v23
	v_mad_u64_u32 v[30:31], s[4:5], s9, v243, v[30:31]
	v_mov_b32_e32 v23, v30
	global_load_dwordx2 v[30:31], v[32:33], off offset:1280
	v_add_u32_e32 v4, 0x800, v58
	ds_read2_b64 v[0:3], v58 offset0:112 offset1:224
	ds_read2_b64 v[4:7], v4 offset0:80 offset1:192
	v_mad_u64_u32 v[20:21], s[0:1], s10, v242, 0
	v_or_b32_e32 v43, 0x380, v243
	v_mov_b32_e32 v26, v21
	v_lshlrev_b32_e32 v21, 3, v43
	v_mad_u64_u32 v[26:27], s[4:5], s11, v242, v[26:27]
	v_mov_b32_e32 v18, s16
	v_mov_b32_e32 v19, s17
	global_load_dwordx2 v[36:37], v21, s[12:13]
	v_mov_b32_e32 v21, v26
	v_lshl_add_u64 v[18:19], v[20:21], 3, v[18:19]
	s_mov_b32 s0, 0x16816817
	v_mov_b32_e32 v42, 0x380
	v_lshl_add_u64 v[20:21], v[22:23], 3, v[18:19]
	s_mov_b32 s1, 0x3f468168
	s_mul_i32 s3, s9, 0x380
	v_mad_u64_u32 v[22:23], s[4:5], s8, v42, v[20:21]
	v_add_u32_e32 v23, s3, v23
	v_mad_u64_u32 v[26:27], s[4:5], s8, v42, v[22:23]
	v_add_u32_e32 v27, s3, v27
	s_waitcnt vmcnt(7) lgkmcnt(2)
	v_mul_f32_e32 v38, v17, v9
	v_mul_f32_e32 v9, v16, v9
	s_waitcnt vmcnt(6) lgkmcnt(1)
	v_mul_f32_e32 v39, v1, v11
	s_waitcnt vmcnt(5)
	v_mul_f32_e32 v40, v3, v13
	s_waitcnt vmcnt(4) lgkmcnt(0)
	v_mul_f32_e32 v41, v5, v15
	v_mul_f32_e32 v11, v0, v11
	;; [unrolled: 1-line block ×3, first 2 shown]
	v_fmac_f32_e32 v38, v16, v8
	v_fma_f32 v8, v8, v17, -v9
	v_fmac_f32_e32 v39, v0, v10
	v_fmac_f32_e32 v40, v2, v12
	;; [unrolled: 1-line block ×3, first 2 shown]
	v_fma_f32 v10, v10, v1, -v11
	v_fma_f32 v16, v12, v3, -v13
	v_cvt_f64_f32_e32 v[0:1], v38
	v_cvt_f64_f32_e32 v[2:3], v8
	v_cvt_f64_f32_e32 v[8:9], v39
	v_cvt_f64_f32_e32 v[12:13], v40
	v_cvt_f64_f32_e32 v[38:39], v41
	global_load_dwordx2 v[40:41], v[32:33], off offset:2176
	v_cvt_f64_f32_e32 v[10:11], v10
	v_cvt_f64_f32_e32 v[16:17], v16
	v_mul_f64 v[0:1], v[0:1], s[0:1]
	v_mul_f64 v[2:3], v[2:3], s[0:1]
	;; [unrolled: 1-line block ×6, first 2 shown]
	v_cvt_f32_f64_e32 v0, v[0:1]
	v_cvt_f32_f64_e32 v1, v[2:3]
	;; [unrolled: 1-line block ×6, first 2 shown]
	global_store_dwordx2 v[20:21], v[0:1], off
	global_store_dwordx2 v[22:23], v[2:3], off
	;; [unrolled: 1-line block ×3, first 2 shown]
	v_mul_f32_e32 v0, v4, v15
	v_fma_f32 v0, v14, v5, -v0
	v_cvt_f64_f32_e32 v[0:1], v0
	v_mul_f64 v[0:1], v[0:1], s[0:1]
	v_cvt_f32_f64_e32 v11, v[0:1]
	s_waitcnt vmcnt(7)
	v_mul_f32_e32 v0, v7, v25
	v_fmac_f32_e32 v0, v6, v24
	v_cvt_f64_f32_e32 v[0:1], v0
	v_mul_f64 v[0:1], v[0:1], s[0:1]
	v_cvt_f32_f64_e32 v8, v[0:1]
	v_mul_f32_e32 v0, v6, v25
	v_fma_f32 v0, v24, v7, -v0
	global_load_dwordx2 v[6:7], v[32:33], off offset:3968
	v_mul_f64 v[38:39], v[38:39], s[0:1]
	v_mad_u64_u32 v[4:5], s[4:5], s8, v42, v[26:27]
	v_cvt_f32_f64_e32 v10, v[38:39]
	v_add_u32_e32 v5, s3, v5
	global_store_dwordx2 v[4:5], v[10:11], off
	v_add_co_u32_e32 v10, vcc, s2, v28
	v_cvt_f64_f32_e32 v[0:1], v0
	s_nop 0
	v_addc_co_u32_e32 v11, vcc, 0, v29, vcc
	global_load_dwordx2 v[12:13], v[10:11], off offset:768
	v_mul_f64 v[0:1], v[0:1], s[0:1]
	v_cvt_f32_f64_e32 v9, v[0:1]
	v_add_u32_e32 v0, 0x1000, v58
	ds_read2_b64 v[0:3], v0 offset0:48 offset1:160
	v_mad_u64_u32 v[4:5], s[4:5], s8, v42, v[4:5]
	v_add_u32_e32 v5, s3, v5
	global_store_dwordx2 v[4:5], v[8:9], off
	s_waitcnt vmcnt(10) lgkmcnt(0)
	v_mul_f32_e32 v8, v1, v35
	v_fmac_f32_e32 v8, v0, v34
	v_mul_f32_e32 v0, v0, v35
	v_fma_f32 v0, v34, v1, -v0
	v_cvt_f64_f32_e32 v[8:9], v8
	v_cvt_f64_f32_e32 v[0:1], v0
	v_mul_f64 v[8:9], v[8:9], s[0:1]
	v_mul_f64 v[0:1], v[0:1], s[0:1]
	v_mad_u64_u32 v[4:5], s[4:5], s8, v42, v[4:5]
	v_cvt_f32_f64_e32 v8, v[8:9]
	v_cvt_f32_f64_e32 v9, v[0:1]
	v_add_u32_e32 v5, s3, v5
	global_store_dwordx2 v[4:5], v[8:9], off
	global_load_dwordx2 v[8:9], v[10:11], off offset:1664
	s_waitcnt vmcnt(11)
	v_mul_f32_e32 v0, v3, v31
	global_load_dwordx2 v[10:11], v[10:11], off offset:2560
	v_fmac_f32_e32 v0, v2, v30
	v_cvt_f64_f32_e32 v[0:1], v0
	v_mul_f64 v[0:1], v[0:1], s[0:1]
	v_cvt_f32_f64_e32 v14, v[0:1]
	v_mul_f32_e32 v0, v2, v31
	v_fma_f32 v0, v30, v3, -v0
	v_cvt_f64_f32_e32 v[0:1], v0
	v_mul_f64 v[0:1], v[0:1], s[0:1]
	v_cvt_f32_f64_e32 v15, v[0:1]
	v_add_u32_e32 v0, 0x1800, v58
	ds_read2_b64 v[0:3], v0 offset0:16 offset1:128
	v_mad_u64_u32 v[4:5], s[4:5], s8, v42, v[4:5]
	v_add_u32_e32 v5, s3, v5
	global_store_dwordx2 v[4:5], v[14:15], off
	s_waitcnt vmcnt(11) lgkmcnt(0)
	v_mul_f32_e32 v14, v1, v41
	v_fmac_f32_e32 v14, v0, v40
	v_mul_f32_e32 v0, v0, v41
	v_fma_f32 v0, v40, v1, -v0
	v_cvt_f64_f32_e32 v[14:15], v14
	v_cvt_f64_f32_e32 v[0:1], v0
	v_mul_f64 v[14:15], v[14:15], s[0:1]
	v_mul_f64 v[0:1], v[0:1], s[0:1]
	v_cvt_f32_f64_e32 v14, v[14:15]
	v_cvt_f32_f64_e32 v15, v[0:1]
	v_mul_f32_e32 v0, v3, v37
	v_fmac_f32_e32 v0, v2, v36
	v_mad_u64_u32 v[4:5], s[4:5], s8, v42, v[4:5]
	v_cvt_f64_f32_e32 v[0:1], v0
	v_add_u32_e32 v5, s3, v5
	v_mul_f64 v[0:1], v[0:1], s[0:1]
	global_store_dwordx2 v[4:5], v[14:15], off
	v_cvt_f32_f64_e32 v14, v[0:1]
	v_mul_f32_e32 v0, v2, v37
	v_fma_f32 v0, v36, v3, -v0
	v_cvt_f64_f32_e32 v[0:1], v0
	v_mul_f64 v[0:1], v[0:1], s[0:1]
	v_cvt_f32_f64_e32 v15, v[0:1]
	v_add_u32_e32 v0, 0x1c00, v58
	v_mad_u64_u32 v[16:17], s[4:5], s8, v43, 0
	ds_read2_b64 v[0:3], v0 offset0:112 offset1:224
	v_mov_b32_e32 v20, v17
	v_mad_u64_u32 v[20:21], s[4:5], s9, v43, v[20:21]
	v_mov_b32_e32 v17, v20
	v_lshl_add_u64 v[16:17], v[16:17], 3, v[18:19]
	global_store_dwordx2 v[16:17], v[14:15], off
	s_waitcnt vmcnt(9) lgkmcnt(0)
	v_mul_f32_e32 v14, v1, v7
	v_fmac_f32_e32 v14, v0, v6
	v_mul_f32_e32 v0, v0, v7
	v_fma_f32 v0, v6, v1, -v0
	v_cvt_f64_f32_e32 v[14:15], v14
	v_cvt_f64_f32_e32 v[0:1], v0
	v_mul_f64 v[14:15], v[14:15], s[0:1]
	v_mul_f64 v[0:1], v[0:1], s[0:1]
	v_cvt_f32_f64_e32 v14, v[14:15]
	v_cvt_f32_f64_e32 v15, v[0:1]
	v_mov_b32_e32 v0, 0x700
	v_mad_u64_u32 v[4:5], s[4:5], s8, v0, v[4:5]
	s_waitcnt vmcnt(7)
	v_mul_f32_e32 v0, v3, v13
	v_fmac_f32_e32 v0, v2, v12
	v_cvt_f64_f32_e32 v[0:1], v0
	v_mul_f64 v[0:1], v[0:1], s[0:1]
	v_cvt_f32_f64_e32 v6, v[0:1]
	v_mul_f32_e32 v0, v2, v13
	v_fma_f32 v0, v12, v3, -v0
	v_cvt_f64_f32_e32 v[0:1], v0
	v_mul_f64 v[0:1], v[0:1], s[0:1]
	v_cvt_f32_f64_e32 v7, v[0:1]
	v_add_u32_e32 v0, 0x2400, v58
	ds_read2_b64 v[0:3], v0 offset0:80 offset1:192
	s_mul_i32 s2, s9, 0x700
	v_add_u32_e32 v5, s2, v5
	global_store_dwordx2 v[4:5], v[14:15], off
	v_mad_u64_u32 v[4:5], s[4:5], s8, v42, v[4:5]
	v_add_u32_e32 v5, s3, v5
	global_store_dwordx2 v[4:5], v[6:7], off
	s_waitcnt vmcnt(6) lgkmcnt(0)
	v_mul_f32_e32 v6, v1, v9
	v_fmac_f32_e32 v6, v0, v8
	v_mul_f32_e32 v0, v0, v9
	v_fma_f32 v0, v8, v1, -v0
	v_cvt_f64_f32_e32 v[6:7], v6
	v_cvt_f64_f32_e32 v[0:1], v0
	v_mul_f64 v[6:7], v[6:7], s[0:1]
	v_mul_f64 v[0:1], v[0:1], s[0:1]
	v_cvt_f32_f64_e32 v6, v[6:7]
	v_cvt_f32_f64_e32 v7, v[0:1]
	v_mad_u64_u32 v[0:1], s[4:5], s8, v42, v[4:5]
	s_waitcnt vmcnt(5)
	v_mul_f32_e32 v4, v3, v11
	v_fmac_f32_e32 v4, v2, v10
	v_mul_f32_e32 v2, v2, v11
	v_fma_f32 v2, v10, v3, -v2
	v_add_u32_e32 v1, s3, v1
	v_cvt_f64_f32_e32 v[4:5], v4
	v_cvt_f64_f32_e32 v[2:3], v2
	global_store_dwordx2 v[0:1], v[6:7], off
	v_mul_f64 v[4:5], v[4:5], s[0:1]
	v_mul_f64 v[2:3], v[2:3], s[0:1]
	v_mad_u64_u32 v[0:1], s[0:1], s8, v42, v[0:1]
	v_cvt_f32_f64_e32 v4, v[4:5]
	v_cvt_f32_f64_e32 v5, v[2:3]
	v_add_u32_e32 v1, s3, v1
	global_store_dwordx2 v[0:1], v[4:5], off
.LBB0_25:
	s_endpgm
	.section	.rodata,"a",@progbits
	.p2align	6, 0x0
	.amdhsa_kernel bluestein_single_back_len1456_dim1_sp_op_CI_CI
		.amdhsa_group_segment_fixed_size 11648
		.amdhsa_private_segment_fixed_size 0
		.amdhsa_kernarg_size 104
		.amdhsa_user_sgpr_count 2
		.amdhsa_user_sgpr_dispatch_ptr 0
		.amdhsa_user_sgpr_queue_ptr 0
		.amdhsa_user_sgpr_kernarg_segment_ptr 1
		.amdhsa_user_sgpr_dispatch_id 0
		.amdhsa_user_sgpr_kernarg_preload_length 0
		.amdhsa_user_sgpr_kernarg_preload_offset 0
		.amdhsa_user_sgpr_private_segment_size 0
		.amdhsa_uses_dynamic_stack 0
		.amdhsa_enable_private_segment 0
		.amdhsa_system_sgpr_workgroup_id_x 1
		.amdhsa_system_sgpr_workgroup_id_y 0
		.amdhsa_system_sgpr_workgroup_id_z 0
		.amdhsa_system_sgpr_workgroup_info 0
		.amdhsa_system_vgpr_workitem_id 0
		.amdhsa_next_free_vgpr 298
		.amdhsa_next_free_sgpr 58
		.amdhsa_accum_offset 256
		.amdhsa_reserve_vcc 1
		.amdhsa_float_round_mode_32 0
		.amdhsa_float_round_mode_16_64 0
		.amdhsa_float_denorm_mode_32 3
		.amdhsa_float_denorm_mode_16_64 3
		.amdhsa_dx10_clamp 1
		.amdhsa_ieee_mode 1
		.amdhsa_fp16_overflow 0
		.amdhsa_tg_split 0
		.amdhsa_exception_fp_ieee_invalid_op 0
		.amdhsa_exception_fp_denorm_src 0
		.amdhsa_exception_fp_ieee_div_zero 0
		.amdhsa_exception_fp_ieee_overflow 0
		.amdhsa_exception_fp_ieee_underflow 0
		.amdhsa_exception_fp_ieee_inexact 0
		.amdhsa_exception_int_div_zero 0
	.end_amdhsa_kernel
	.text
.Lfunc_end0:
	.size	bluestein_single_back_len1456_dim1_sp_op_CI_CI, .Lfunc_end0-bluestein_single_back_len1456_dim1_sp_op_CI_CI
                                        ; -- End function
	.section	.AMDGPU.csdata,"",@progbits
; Kernel info:
; codeLenInByte = 15424
; NumSgprs: 64
; NumVgprs: 256
; NumAgprs: 42
; TotalNumVgprs: 298
; ScratchSize: 0
; MemoryBound: 0
; FloatMode: 240
; IeeeMode: 1
; LDSByteSize: 11648 bytes/workgroup (compile time only)
; SGPRBlocks: 7
; VGPRBlocks: 37
; NumSGPRsForWavesPerEU: 64
; NumVGPRsForWavesPerEU: 298
; AccumOffset: 256
; Occupancy: 1
; WaveLimiterHint : 1
; COMPUTE_PGM_RSRC2:SCRATCH_EN: 0
; COMPUTE_PGM_RSRC2:USER_SGPR: 2
; COMPUTE_PGM_RSRC2:TRAP_HANDLER: 0
; COMPUTE_PGM_RSRC2:TGID_X_EN: 1
; COMPUTE_PGM_RSRC2:TGID_Y_EN: 0
; COMPUTE_PGM_RSRC2:TGID_Z_EN: 0
; COMPUTE_PGM_RSRC2:TIDIG_COMP_CNT: 0
; COMPUTE_PGM_RSRC3_GFX90A:ACCUM_OFFSET: 63
; COMPUTE_PGM_RSRC3_GFX90A:TG_SPLIT: 0
	.text
	.p2alignl 6, 3212836864
	.fill 256, 4, 3212836864
	.type	__hip_cuid_3b50b794613f6dfa,@object ; @__hip_cuid_3b50b794613f6dfa
	.section	.bss,"aw",@nobits
	.globl	__hip_cuid_3b50b794613f6dfa
__hip_cuid_3b50b794613f6dfa:
	.byte	0                               ; 0x0
	.size	__hip_cuid_3b50b794613f6dfa, 1

	.ident	"AMD clang version 19.0.0git (https://github.com/RadeonOpenCompute/llvm-project roc-6.4.0 25133 c7fe45cf4b819c5991fe208aaa96edf142730f1d)"
	.section	".note.GNU-stack","",@progbits
	.addrsig
	.addrsig_sym __hip_cuid_3b50b794613f6dfa
	.amdgpu_metadata
---
amdhsa.kernels:
  - .agpr_count:     42
    .args:
      - .actual_access:  read_only
        .address_space:  global
        .offset:         0
        .size:           8
        .value_kind:     global_buffer
      - .actual_access:  read_only
        .address_space:  global
        .offset:         8
        .size:           8
        .value_kind:     global_buffer
      - .actual_access:  read_only
        .address_space:  global
        .offset:         16
        .size:           8
        .value_kind:     global_buffer
      - .actual_access:  read_only
        .address_space:  global
        .offset:         24
        .size:           8
        .value_kind:     global_buffer
      - .actual_access:  read_only
        .address_space:  global
        .offset:         32
        .size:           8
        .value_kind:     global_buffer
      - .offset:         40
        .size:           8
        .value_kind:     by_value
      - .address_space:  global
        .offset:         48
        .size:           8
        .value_kind:     global_buffer
      - .address_space:  global
        .offset:         56
        .size:           8
        .value_kind:     global_buffer
      - .address_space:  global
        .offset:         64
        .size:           8
        .value_kind:     global_buffer
      - .address_space:  global
        .offset:         72
        .size:           8
        .value_kind:     global_buffer
      - .offset:         80
        .size:           4
        .value_kind:     by_value
      - .address_space:  global
        .offset:         88
        .size:           8
        .value_kind:     global_buffer
      - .address_space:  global
        .offset:         96
        .size:           8
        .value_kind:     global_buffer
    .group_segment_fixed_size: 11648
    .kernarg_segment_align: 8
    .kernarg_segment_size: 104
    .language:       OpenCL C
    .language_version:
      - 2
      - 0
    .max_flat_workgroup_size: 182
    .name:           bluestein_single_back_len1456_dim1_sp_op_CI_CI
    .private_segment_fixed_size: 0
    .sgpr_count:     64
    .sgpr_spill_count: 0
    .symbol:         bluestein_single_back_len1456_dim1_sp_op_CI_CI.kd
    .uniform_work_group_size: 1
    .uses_dynamic_stack: false
    .vgpr_count:     298
    .vgpr_spill_count: 0
    .wavefront_size: 64
amdhsa.target:   amdgcn-amd-amdhsa--gfx950
amdhsa.version:
  - 1
  - 2
...

	.end_amdgpu_metadata
